;; amdgpu-corpus repo=ROCm/rocFFT kind=compiled arch=gfx1030 opt=O3
	.text
	.amdgcn_target "amdgcn-amd-amdhsa--gfx1030"
	.amdhsa_code_object_version 6
	.protected	fft_rtc_fwd_len765_factors_17_3_5_3_wgs_255_tpt_51_halfLds_sp_ip_CI_unitstride_sbrr_dirReg ; -- Begin function fft_rtc_fwd_len765_factors_17_3_5_3_wgs_255_tpt_51_halfLds_sp_ip_CI_unitstride_sbrr_dirReg
	.globl	fft_rtc_fwd_len765_factors_17_3_5_3_wgs_255_tpt_51_halfLds_sp_ip_CI_unitstride_sbrr_dirReg
	.p2align	8
	.type	fft_rtc_fwd_len765_factors_17_3_5_3_wgs_255_tpt_51_halfLds_sp_ip_CI_unitstride_sbrr_dirReg,@function
fft_rtc_fwd_len765_factors_17_3_5_3_wgs_255_tpt_51_halfLds_sp_ip_CI_unitstride_sbrr_dirReg: ; @fft_rtc_fwd_len765_factors_17_3_5_3_wgs_255_tpt_51_halfLds_sp_ip_CI_unitstride_sbrr_dirReg
; %bb.0:
	s_load_dwordx4 s[8:11], s[4:5], 0x0
	v_mul_u32_u24_e32 v1, 0x506, v0
	s_clause 0x1
	s_load_dwordx2 s[2:3], s[4:5], 0x50
	s_load_dwordx2 s[12:13], s[4:5], 0x18
	v_mov_b32_e32 v6, 0
	v_lshrrev_b32_e32 v1, 16, v1
	v_mad_u64_u32 v[4:5], null, s6, 5, v[1:2]
	v_mov_b32_e32 v5, v6
	v_mov_b32_e32 v1, 0
	;; [unrolled: 1-line block ×5, first 2 shown]
	s_waitcnt lgkmcnt(0)
	v_cmp_lt_u64_e64 s0, s[10:11], 2
	s_and_b32 vcc_lo, exec_lo, s0
	s_cbranch_vccnz .LBB0_8
; %bb.1:
	s_load_dwordx2 s[0:1], s[4:5], 0x10
	v_mov_b32_e32 v1, 0
	v_mov_b32_e32 v9, v5
	s_add_u32 s6, s12, 8
	v_mov_b32_e32 v2, 0
	v_mov_b32_e32 v8, v4
	s_addc_u32 s7, s13, 0
	s_mov_b64 s[16:17], 1
	s_waitcnt lgkmcnt(0)
	s_add_u32 s14, s0, 8
	s_addc_u32 s15, s1, 0
.LBB0_2:                                ; =>This Inner Loop Header: Depth=1
	s_load_dwordx2 s[18:19], s[14:15], 0x0
                                        ; implicit-def: $vgpr10_vgpr11
	s_mov_b32 s0, exec_lo
	s_waitcnt lgkmcnt(0)
	v_or_b32_e32 v7, s19, v9
	v_cmpx_ne_u64_e32 0, v[6:7]
	s_xor_b32 s1, exec_lo, s0
	s_cbranch_execz .LBB0_4
; %bb.3:                                ;   in Loop: Header=BB0_2 Depth=1
	v_cvt_f32_u32_e32 v3, s18
	v_cvt_f32_u32_e32 v5, s19
	s_sub_u32 s0, 0, s18
	s_subb_u32 s20, 0, s19
	v_fmac_f32_e32 v3, 0x4f800000, v5
	v_rcp_f32_e32 v3, v3
	v_mul_f32_e32 v3, 0x5f7ffffc, v3
	v_mul_f32_e32 v5, 0x2f800000, v3
	v_trunc_f32_e32 v5, v5
	v_fmac_f32_e32 v3, 0xcf800000, v5
	v_cvt_u32_f32_e32 v5, v5
	v_cvt_u32_f32_e32 v3, v3
	v_mul_lo_u32 v7, s0, v5
	v_mul_hi_u32 v10, s0, v3
	v_mul_lo_u32 v11, s20, v3
	v_add_nc_u32_e32 v7, v10, v7
	v_mul_lo_u32 v10, s0, v3
	v_add_nc_u32_e32 v7, v7, v11
	v_mul_hi_u32 v11, v3, v10
	v_mul_lo_u32 v12, v3, v7
	v_mul_hi_u32 v13, v3, v7
	v_mul_hi_u32 v14, v5, v10
	v_mul_lo_u32 v10, v5, v10
	v_mul_hi_u32 v15, v5, v7
	v_mul_lo_u32 v7, v5, v7
	v_add_co_u32 v11, vcc_lo, v11, v12
	v_add_co_ci_u32_e32 v12, vcc_lo, 0, v13, vcc_lo
	v_add_co_u32 v10, vcc_lo, v11, v10
	v_add_co_ci_u32_e32 v10, vcc_lo, v12, v14, vcc_lo
	v_add_co_ci_u32_e32 v11, vcc_lo, 0, v15, vcc_lo
	v_add_co_u32 v7, vcc_lo, v10, v7
	v_add_co_ci_u32_e32 v10, vcc_lo, 0, v11, vcc_lo
	v_add_co_u32 v3, vcc_lo, v3, v7
	v_add_co_ci_u32_e32 v5, vcc_lo, v5, v10, vcc_lo
	v_mul_hi_u32 v7, s0, v3
	v_mul_lo_u32 v11, s20, v3
	v_mul_lo_u32 v10, s0, v5
	v_add_nc_u32_e32 v7, v7, v10
	v_mul_lo_u32 v10, s0, v3
	v_add_nc_u32_e32 v7, v7, v11
	v_mul_hi_u32 v11, v3, v10
	v_mul_lo_u32 v12, v3, v7
	v_mul_hi_u32 v13, v3, v7
	v_mul_hi_u32 v14, v5, v10
	v_mul_lo_u32 v10, v5, v10
	v_mul_hi_u32 v15, v5, v7
	v_mul_lo_u32 v7, v5, v7
	v_add_co_u32 v11, vcc_lo, v11, v12
	v_add_co_ci_u32_e32 v12, vcc_lo, 0, v13, vcc_lo
	v_add_co_u32 v10, vcc_lo, v11, v10
	v_add_co_ci_u32_e32 v10, vcc_lo, v12, v14, vcc_lo
	v_add_co_ci_u32_e32 v11, vcc_lo, 0, v15, vcc_lo
	v_add_co_u32 v7, vcc_lo, v10, v7
	v_add_co_ci_u32_e32 v10, vcc_lo, 0, v11, vcc_lo
	v_add_co_u32 v3, vcc_lo, v3, v7
	v_add_co_ci_u32_e32 v5, vcc_lo, v5, v10, vcc_lo
	v_mul_hi_u32 v7, v8, v3
	v_mad_u64_u32 v[12:13], null, v9, v3, 0
	v_mad_u64_u32 v[10:11], null, v8, v5, 0
	v_mad_u64_u32 v[14:15], null, v9, v5, 0
	v_add_co_u32 v3, vcc_lo, v7, v10
	v_add_co_ci_u32_e32 v5, vcc_lo, 0, v11, vcc_lo
	v_add_co_u32 v3, vcc_lo, v3, v12
	v_add_co_ci_u32_e32 v3, vcc_lo, v5, v13, vcc_lo
	v_add_co_ci_u32_e32 v5, vcc_lo, 0, v15, vcc_lo
	v_add_co_u32 v3, vcc_lo, v3, v14
	v_add_co_ci_u32_e32 v5, vcc_lo, 0, v5, vcc_lo
	v_mul_lo_u32 v7, s19, v3
	v_mad_u64_u32 v[10:11], null, s18, v3, 0
	v_mul_lo_u32 v12, s18, v5
	v_sub_co_u32 v10, vcc_lo, v8, v10
	v_add3_u32 v7, v11, v12, v7
	v_sub_nc_u32_e32 v11, v9, v7
	v_subrev_co_ci_u32_e64 v11, s0, s19, v11, vcc_lo
	v_add_co_u32 v12, s0, v3, 2
	v_add_co_ci_u32_e64 v13, s0, 0, v5, s0
	v_sub_co_u32 v14, s0, v10, s18
	v_sub_co_ci_u32_e32 v7, vcc_lo, v9, v7, vcc_lo
	v_subrev_co_ci_u32_e64 v11, s0, 0, v11, s0
	v_cmp_le_u32_e32 vcc_lo, s18, v14
	v_cmp_eq_u32_e64 s0, s19, v7
	v_cndmask_b32_e64 v14, 0, -1, vcc_lo
	v_cmp_le_u32_e32 vcc_lo, s19, v11
	v_cndmask_b32_e64 v15, 0, -1, vcc_lo
	v_cmp_le_u32_e32 vcc_lo, s18, v10
	;; [unrolled: 2-line block ×3, first 2 shown]
	v_cndmask_b32_e64 v16, 0, -1, vcc_lo
	v_cmp_eq_u32_e32 vcc_lo, s19, v11
	v_cndmask_b32_e64 v7, v16, v10, s0
	v_cndmask_b32_e32 v11, v15, v14, vcc_lo
	v_add_co_u32 v14, vcc_lo, v3, 1
	v_add_co_ci_u32_e32 v15, vcc_lo, 0, v5, vcc_lo
	v_cmp_ne_u32_e32 vcc_lo, 0, v11
	v_cndmask_b32_e32 v10, v15, v13, vcc_lo
	v_cndmask_b32_e32 v12, v14, v12, vcc_lo
	v_cmp_ne_u32_e32 vcc_lo, 0, v7
	v_cndmask_b32_e32 v11, v5, v10, vcc_lo
	v_cndmask_b32_e32 v10, v3, v12, vcc_lo
.LBB0_4:                                ;   in Loop: Header=BB0_2 Depth=1
	s_andn2_saveexec_b32 s0, s1
	s_cbranch_execz .LBB0_6
; %bb.5:                                ;   in Loop: Header=BB0_2 Depth=1
	v_cvt_f32_u32_e32 v3, s18
	s_sub_i32 s1, 0, s18
	v_mov_b32_e32 v11, v6
	v_rcp_iflag_f32_e32 v3, v3
	v_mul_f32_e32 v3, 0x4f7ffffe, v3
	v_cvt_u32_f32_e32 v3, v3
	v_mul_lo_u32 v5, s1, v3
	v_mul_hi_u32 v5, v3, v5
	v_add_nc_u32_e32 v3, v3, v5
	v_mul_hi_u32 v3, v8, v3
	v_mul_lo_u32 v5, v3, s18
	v_add_nc_u32_e32 v7, 1, v3
	v_sub_nc_u32_e32 v5, v8, v5
	v_subrev_nc_u32_e32 v10, s18, v5
	v_cmp_le_u32_e32 vcc_lo, s18, v5
	v_cndmask_b32_e32 v5, v5, v10, vcc_lo
	v_cndmask_b32_e32 v3, v3, v7, vcc_lo
	v_cmp_le_u32_e32 vcc_lo, s18, v5
	v_add_nc_u32_e32 v7, 1, v3
	v_cndmask_b32_e32 v10, v3, v7, vcc_lo
.LBB0_6:                                ;   in Loop: Header=BB0_2 Depth=1
	s_or_b32 exec_lo, exec_lo, s0
	s_load_dwordx2 s[0:1], s[6:7], 0x0
	v_mul_lo_u32 v3, v11, s18
	v_mul_lo_u32 v5, v10, s19
	v_mad_u64_u32 v[12:13], null, v10, s18, 0
	s_add_u32 s16, s16, 1
	s_addc_u32 s17, s17, 0
	s_add_u32 s6, s6, 8
	s_addc_u32 s7, s7, 0
	;; [unrolled: 2-line block ×3, first 2 shown]
	v_add3_u32 v3, v13, v5, v3
	v_sub_co_u32 v5, vcc_lo, v8, v12
	v_sub_co_ci_u32_e32 v3, vcc_lo, v9, v3, vcc_lo
	s_waitcnt lgkmcnt(0)
	v_mul_lo_u32 v7, s1, v5
	v_mul_lo_u32 v3, s0, v3
	v_mad_u64_u32 v[1:2], null, s0, v5, v[1:2]
	v_cmp_ge_u64_e64 s0, s[16:17], s[10:11]
	s_and_b32 vcc_lo, exec_lo, s0
	v_add3_u32 v2, v7, v2, v3
	s_cbranch_vccnz .LBB0_8
; %bb.7:                                ;   in Loop: Header=BB0_2 Depth=1
	v_mov_b32_e32 v8, v10
	v_mov_b32_e32 v9, v11
	s_branch .LBB0_2
.LBB0_8:
	s_lshl_b64 s[0:1], s[10:11], 3
	v_mul_hi_u32 v3, 0x5050506, v0
	s_add_u32 s0, s12, s0
	s_addc_u32 s1, s13, s1
	v_mov_b32_e32 v42, 0
	s_load_dwordx2 s[0:1], s[0:1], 0x0
	s_load_dwordx2 s[4:5], s[4:5], 0x20
	v_mov_b32_e32 v41, 0
                                        ; implicit-def: $vgpr52
                                        ; implicit-def: $vgpr50
                                        ; implicit-def: $vgpr40
                                        ; implicit-def: $vgpr26
                                        ; implicit-def: $vgpr18
                                        ; implicit-def: $vgpr14
                                        ; implicit-def: $vgpr46
                                        ; implicit-def: $vgpr48
                                        ; implicit-def: $vgpr44
                                        ; implicit-def: $vgpr28
                                        ; implicit-def: $vgpr24
                                        ; implicit-def: $vgpr16
                                        ; implicit-def: $vgpr12
                                        ; implicit-def: $vgpr8
	v_mul_u32_u24_e32 v3, 51, v3
	v_sub_nc_u32_e32 v0, v0, v3
	s_waitcnt lgkmcnt(0)
	v_mul_lo_u32 v5, s0, v11
	v_mul_lo_u32 v6, s1, v10
	v_mad_u64_u32 v[1:2], null, s0, v10, v[1:2]
	v_cmp_gt_u64_e32 vcc_lo, s[4:5], v[10:11]
	v_cmp_gt_u32_e64 s0, 45, v0
                                        ; implicit-def: $vgpr10
	s_and_b32 s1, vcc_lo, s0
	v_add3_u32 v2, v6, v2, v5
                                        ; implicit-def: $vgpr6
	v_lshlrev_b64 v[2:3], 3, v[1:2]
	s_and_saveexec_b32 s4, s1
; %bb.9:
	v_mov_b32_e32 v1, 0
	v_lshlrev_b64 v[5:6], 3, v[0:1]
	v_add_co_u32 v1, s1, s2, v2
	v_add_co_ci_u32_e64 v7, s1, s3, v3, s1
	v_add_co_u32 v5, s1, v1, v5
	v_add_co_ci_u32_e64 v6, s1, v7, v6, s1
	;; [unrolled: 2-line block ×4, first 2 shown]
	s_clause 0x10
	global_load_dwordx2 v[41:42], v[5:6], off
	global_load_dwordx2 v[51:52], v[5:6], off offset:360
	global_load_dwordx2 v[49:50], v[5:6], off offset:720
	global_load_dwordx2 v[39:40], v[5:6], off offset:1080
	global_load_dwordx2 v[25:26], v[5:6], off offset:1440
	global_load_dwordx2 v[17:18], v[5:6], off offset:1800
	global_load_dwordx2 v[13:14], v[15:16], off offset:112
	global_load_dwordx2 v[9:10], v[15:16], off offset:472
	global_load_dwordx2 v[5:6], v[15:16], off offset:832
	global_load_dwordx2 v[7:8], v[15:16], off offset:1192
	global_load_dwordx2 v[11:12], v[15:16], off offset:1552
	global_load_dwordx2 v[15:16], v[15:16], off offset:1912
	global_load_dwordx2 v[23:24], v[19:20], off offset:224
	global_load_dwordx2 v[27:28], v[19:20], off offset:584
	global_load_dwordx2 v[43:44], v[19:20], off offset:944
	global_load_dwordx2 v[47:48], v[19:20], off offset:1304
	global_load_dwordx2 v[45:46], v[19:20], off offset:1664
; %bb.10:
	s_or_b32 exec_lo, exec_lo, s4
	v_mul_hi_u32 v1, 0xcccccccd, v4
	v_lshrrev_b32_e32 v1, 2, v1
	v_lshl_add_u32 v1, v1, 2, v1
	v_sub_nc_u32_e32 v1, v4, v1
	v_mul_u32_u24_e32 v1, 0x2fd, v1
	v_lshlrev_b32_e32 v1, 2, v1
	s_and_saveexec_b32 s1, s0
	s_cbranch_execz .LBB0_12
; %bb.11:
	s_waitcnt vmcnt(0)
	v_sub_f32_e32 v33, v52, v46
	v_add_f32_e32 v21, v51, v45
	v_sub_f32_e32 v32, v50, v48
	v_add_f32_e32 v22, v49, v47
	v_sub_f32_e32 v31, v40, v44
	v_mul_f32_e32 v34, 0xbe3c28d5, v33
	v_add_f32_e32 v20, v39, v43
	v_mul_f32_e32 v35, 0x3eb8f4ab, v32
	v_sub_f32_e32 v30, v26, v28
	v_mul_f32_e32 v37, 0xbf06c442, v31
	v_fmamk_f32 v36, v21, 0xbf7ba420, v34
	v_fma_f32 v34, 0xbf7ba420, v21, -v34
	v_fmamk_f32 v38, v22, 0x3f6eb680, v35
	v_fma_f32 v35, 0x3f6eb680, v22, -v35
	v_add_f32_e32 v4, v25, v27
	v_add_f32_e32 v36, v41, v36
	;; [unrolled: 1-line block ×3, first 2 shown]
	v_sub_f32_e32 v29, v18, v24
	v_mul_f32_e32 v53, 0x3f2c7751, v30
	v_fmamk_f32 v54, v20, 0xbf59a7d5, v37
	v_add_f32_e32 v36, v36, v38
	v_fma_f32 v37, 0xbf59a7d5, v20, -v37
	v_add_f32_e32 v34, v34, v35
	v_add_f32_e32 v19, v17, v23
	v_mul_f32_e32 v55, 0xbf4c4adb, v29
	v_add_f32_e32 v36, v36, v54
	v_fma_f32 v54, 0x3f3d2fb0, v4, -v53
	v_add_f32_e32 v34, v34, v37
	v_fmamk_f32 v56, v4, 0x3f3d2fb0, v53
	v_sub_f32_e32 v38, v14, v16
	v_fmamk_f32 v35, v19, 0xbf1a4643, v55
	v_fma_f32 v55, 0xbf1a4643, v19, -v55
	v_add_f32_e32 v54, v34, v54
	v_add_f32_e32 v56, v36, v56
	;; [unrolled: 1-line block ×3, first 2 shown]
	v_mul_f32_e32 v37, 0x3f65296c, v38
	v_sub_f32_e32 v53, v10, v12
	v_add_f32_e32 v54, v54, v55
	v_mul_f32_e32 v55, 0xbf06c442, v33
	v_mul_f32_e32 v61, 0x3f65296c, v32
	v_fma_f32 v59, 0x3ee437d1, v36, -v37
	v_add_f32_e32 v56, v56, v35
	v_fmamk_f32 v57, v36, 0x3ee437d1, v37
	v_fmamk_f32 v60, v21, 0xbf59a7d5, v55
	v_fma_f32 v55, 0xbf59a7d5, v21, -v55
	v_add_f32_e32 v34, v9, v11
	v_mul_f32_e32 v58, 0xbf763a35, v53
	v_sub_f32_e32 v35, v6, v8
	v_add_f32_e32 v54, v54, v59
	v_add_f32_e32 v59, v41, v60
	v_fmamk_f32 v60, v22, 0x3ee437d1, v61
	v_mul_f32_e32 v63, 0xbf7ee86f, v31
	v_add_f32_e32 v55, v41, v55
	v_fma_f32 v61, 0x3ee437d1, v22, -v61
	v_add_f32_e32 v56, v56, v57
	v_fmamk_f32 v57, v34, 0xbe8c1d8e, v58
	v_add_f32_e32 v37, v5, v7
	v_mul_f32_e32 v62, 0x3f7ee86f, v35
	v_fma_f32 v58, 0xbe8c1d8e, v34, -v58
	v_add_f32_e32 v55, v55, v61
	v_fma_f32 v61, 0x3dbcf732, v20, -v63
	v_add_f32_e32 v56, v56, v57
	v_add_f32_e32 v57, v59, v60
	v_fmamk_f32 v59, v20, 0x3dbcf732, v63
	v_mul_f32_e32 v60, 0x3f4c4adb, v30
	v_add_f32_e32 v54, v54, v58
	v_add_f32_e32 v55, v55, v61
	v_fma_f32 v61, 0x3dbcf732, v37, -v62
	v_fmamk_f32 v63, v37, 0x3dbcf732, v62
	v_add_f32_e32 v57, v57, v59
	v_fmamk_f32 v58, v4, 0xbf1a4643, v60
	v_mul_f32_e32 v59, 0xbeb8f4ab, v29
	v_fma_f32 v60, 0xbf1a4643, v4, -v60
	v_add_f32_e32 v54, v54, v61
	v_mul_f32_e32 v61, 0xbf4c4adb, v33
	v_add_f32_e32 v56, v56, v63
	v_add_f32_e32 v57, v57, v58
	v_fmamk_f32 v58, v19, 0x3f6eb680, v59
	v_add_f32_e32 v55, v55, v60
	v_mul_f32_e32 v60, 0xbe3c28d5, v38
	v_fma_f32 v59, 0x3f6eb680, v19, -v59
	v_fmamk_f32 v62, v21, 0xbf1a4643, v61
	v_mul_f32_e32 v63, 0x3f763a35, v32
	v_add_f32_e32 v57, v57, v58
	v_fmamk_f32 v58, v36, 0xbf7ba420, v60
	v_add_f32_e32 v55, v55, v59
	v_mul_f32_e32 v59, 0x3f2c7751, v53
	v_fma_f32 v60, 0xbf7ba420, v36, -v60
	v_add_f32_e32 v62, v41, v62
	v_fmamk_f32 v64, v22, 0xbe8c1d8e, v63
	v_mul_f32_e32 v65, 0xbeb8f4ab, v31
	v_add_f32_e32 v57, v57, v58
	v_fmamk_f32 v58, v34, 0x3f3d2fb0, v59
	v_add_f32_e32 v55, v55, v60
	v_mul_f32_e32 v60, 0xbf763a35, v35
	v_fma_f32 v59, 0x3f3d2fb0, v34, -v59
	v_add_f32_e32 v62, v62, v64
	v_fmamk_f32 v64, v20, 0x3f6eb680, v65
	v_mul_f32_e32 v66, 0xbf06c442, v30
	v_add_f32_e32 v57, v57, v58
	v_fmamk_f32 v58, v37, 0xbe8c1d8e, v60
	v_add_f32_e32 v55, v55, v59
	v_add_f32_e32 v59, v62, v64
	v_fmamk_f32 v62, v4, 0xbf59a7d5, v66
	v_mul_f32_e32 v64, 0x3f7ee86f, v29
	v_fma_f32 v60, 0xbe8c1d8e, v37, -v60
	v_add_f32_e32 v57, v57, v58
	v_fma_f32 v58, 0xbf1a4643, v21, -v61
	v_add_f32_e32 v59, v59, v62
	v_fmamk_f32 v61, v19, 0x3dbcf732, v64
	v_mul_f32_e32 v62, 0xbf2c7751, v38
	v_add_f32_e32 v55, v55, v60
	v_add_f32_e32 v58, v41, v58
	v_fma_f32 v60, 0xbe8c1d8e, v22, -v63
	v_add_f32_e32 v59, v59, v61
	v_fmamk_f32 v61, v36, 0x3f3d2fb0, v62
	v_mul_f32_e32 v63, 0xbf763a35, v33
	v_mul_f32_e32 v69, 0x3f2c7751, v31
	v_add_f32_e32 v58, v58, v60
	v_fma_f32 v60, 0x3f6eb680, v20, -v65
	v_add_f32_e32 v59, v59, v61
	v_fmamk_f32 v61, v21, 0xbe8c1d8e, v63
	v_mul_f32_e32 v65, 0x3f06c442, v32
	v_mul_f32_e32 v67, 0xbe3c28d5, v53
	v_add_f32_e32 v58, v58, v60
	v_fma_f32 v60, 0xbf59a7d5, v4, -v66
	v_add_f32_e32 v61, v41, v61
	v_fmamk_f32 v66, v22, 0xbf59a7d5, v65
	v_fmamk_f32 v68, v34, 0xbf7ba420, v67
	v_fma_f32 v63, 0xbe8c1d8e, v21, -v63
	v_add_f32_e32 v58, v58, v60
	v_fma_f32 v60, 0x3dbcf732, v19, -v64
	v_add_f32_e32 v61, v61, v66
	v_fmamk_f32 v64, v20, 0x3f3d2fb0, v69
	v_mul_f32_e32 v66, 0xbf65296c, v30
	v_add_f32_e32 v59, v59, v68
	v_add_f32_e32 v58, v58, v60
	v_fma_f32 v60, 0x3f3d2fb0, v36, -v62
	v_add_f32_e32 v61, v61, v64
	v_fmamk_f32 v62, v4, 0x3ee437d1, v66
	v_mul_f32_e32 v64, 0xbe3c28d5, v29
	v_mul_f32_e32 v68, 0x3f65296c, v35
	v_add_f32_e32 v58, v58, v60
	v_fma_f32 v60, 0xbf7ba420, v34, -v67
	v_add_f32_e32 v61, v61, v62
	v_fmamk_f32 v62, v19, 0xbf7ba420, v64
	v_mul_f32_e32 v67, 0x3f7ee86f, v38
	v_fmamk_f32 v70, v37, 0x3ee437d1, v68
	v_add_f32_e32 v58, v58, v60
	v_add_f32_e32 v63, v41, v63
	;; [unrolled: 1-line block ×3, first 2 shown]
	v_fmamk_f32 v61, v36, 0x3dbcf732, v67
	v_mul_f32_e32 v62, 0xbeb8f4ab, v53
	v_add_f32_e32 v59, v59, v70
	v_fma_f32 v65, 0xbf59a7d5, v22, -v65
	v_fma_f32 v68, 0x3ee437d1, v37, -v68
	v_add_f32_e32 v60, v60, v61
	v_fmamk_f32 v61, v34, 0x3f6eb680, v62
	v_mul_f32_e32 v70, 0xbf7ee86f, v33
	v_add_f32_e32 v63, v63, v65
	v_fma_f32 v65, 0x3f3d2fb0, v20, -v69
	v_add_f32_e32 v58, v58, v68
	v_add_f32_e32 v60, v60, v61
	v_fmamk_f32 v61, v21, 0x3dbcf732, v70
	v_mul_f32_e32 v68, 0xbe3c28d5, v32
	v_add_f32_e32 v63, v63, v65
	v_fma_f32 v65, 0x3ee437d1, v4, -v66
	v_mul_f32_e32 v66, 0xbf4c4adb, v35
	v_add_f32_e32 v61, v41, v61
	v_fmamk_f32 v69, v22, 0xbf7ba420, v68
	v_mul_f32_e32 v71, 0x3f763a35, v31
	v_add_f32_e32 v63, v63, v65
	v_fma_f32 v64, 0xbf7ba420, v19, -v64
	v_fmamk_f32 v65, v37, 0xbf1a4643, v66
	v_add_f32_e32 v61, v61, v69
	v_fmamk_f32 v69, v20, 0xbe8c1d8e, v71
	v_mul_f32_e32 v72, 0x3eb8f4ab, v30
	v_add_f32_e32 v63, v63, v64
	v_fma_f32 v64, 0x3dbcf732, v36, -v67
	v_add_f32_e32 v60, v60, v65
	v_add_f32_e32 v61, v61, v69
	v_fmamk_f32 v65, v4, 0x3f6eb680, v72
	v_mul_f32_e32 v67, 0xbf65296c, v29
	v_add_f32_e32 v63, v63, v64
	v_fma_f32 v62, 0x3f6eb680, v34, -v62
	v_fma_f32 v64, 0x3dbcf732, v21, -v70
	v_add_f32_e32 v61, v61, v65
	v_fmamk_f32 v65, v19, 0x3ee437d1, v67
	v_mul_f32_e32 v69, 0xbf06c442, v38
	v_add_f32_e32 v62, v63, v62
	v_add_f32_e32 v63, v41, v64
	v_fma_f32 v64, 0xbf7ba420, v22, -v68
	v_add_f32_e32 v61, v61, v65
	v_fmamk_f32 v65, v36, 0xbf59a7d5, v69
	v_mul_f32_e32 v68, 0x3f4c4adb, v53
	v_fma_f32 v66, 0xbf1a4643, v37, -v66
	v_add_f32_e32 v63, v63, v64
	v_fma_f32 v64, 0xbe8c1d8e, v20, -v71
	v_add_f32_e32 v61, v61, v65
	v_fmamk_f32 v65, v34, 0xbf1a4643, v68
	v_add_f32_e32 v62, v62, v66
	v_mul_f32_e32 v66, 0xbf65296c, v33
	v_add_f32_e32 v63, v63, v64
	v_fma_f32 v64, 0x3f6eb680, v4, -v72
	v_add_f32_e32 v61, v61, v65
	v_mul_f32_e32 v65, 0x3f2c7751, v35
	v_fmamk_f32 v70, v21, 0x3ee437d1, v66
	v_mul_f32_e32 v71, 0xbf4c4adb, v32
	v_add_f32_e32 v63, v63, v64
	v_fma_f32 v64, 0x3ee437d1, v19, -v67
	v_fmamk_f32 v67, v37, 0x3f3d2fb0, v65
	v_add_f32_e32 v70, v41, v70
	v_fmamk_f32 v72, v22, 0xbf1a4643, v71
	v_mul_f32_e32 v73, 0x3e3c28d5, v31
	v_add_f32_e32 v63, v63, v64
	v_fma_f32 v64, 0xbf59a7d5, v36, -v69
	v_add_f32_e32 v61, v61, v67
	v_add_f32_e32 v67, v70, v72
	v_fmamk_f32 v69, v20, 0xbf7ba420, v73
	v_mul_f32_e32 v70, 0x3f763a35, v30
	v_add_f32_e32 v63, v63, v64
	v_fma_f32 v64, 0xbf1a4643, v34, -v68
	v_fma_f32 v66, 0x3ee437d1, v21, -v66
	v_add_f32_e32 v67, v67, v69
	v_fmamk_f32 v68, v4, 0xbe8c1d8e, v70
	v_mul_f32_e32 v69, 0x3f2c7751, v29
	v_add_f32_e32 v63, v63, v64
	v_add_f32_e32 v64, v41, v66
	v_fma_f32 v66, 0xbf1a4643, v22, -v71
	v_add_f32_e32 v67, v67, v68
	v_fmamk_f32 v68, v19, 0x3f3d2fb0, v69
	v_mul_f32_e32 v71, 0xbeb8f4ab, v38
	v_fma_f32 v65, 0x3f3d2fb0, v37, -v65
	v_add_f32_e32 v64, v64, v66
	v_fma_f32 v66, 0xbf7ba420, v20, -v73
	v_add_f32_e32 v67, v67, v68
	v_fmamk_f32 v68, v36, 0x3f6eb680, v71
	v_add_f32_e32 v63, v63, v65
	v_mul_f32_e32 v65, 0xbf2c7751, v33
	v_add_f32_e32 v64, v64, v66
	v_fma_f32 v66, 0xbe8c1d8e, v4, -v70
	v_add_f32_e32 v67, v67, v68
	v_mul_f32_e32 v68, 0xbf7ee86f, v53
	v_fmamk_f32 v70, v21, 0x3f3d2fb0, v65
	v_mul_f32_e32 v72, 0xbf7ee86f, v32
	v_add_f32_e32 v64, v64, v66
	v_fma_f32 v66, 0x3f3d2fb0, v19, -v69
	v_fmamk_f32 v69, v34, 0x3dbcf732, v68
	v_add_f32_e32 v70, v41, v70
	v_fmamk_f32 v73, v22, 0x3dbcf732, v72
	v_mul_f32_e32 v74, 0xbf4c4adb, v31
	v_add_f32_e32 v64, v64, v66
	v_fma_f32 v66, 0x3f6eb680, v36, -v71
	v_add_f32_e32 v67, v67, v69
	v_add_f32_e32 v69, v70, v73
	v_fmamk_f32 v70, v20, 0xbf1a4643, v74
	v_mul_f32_e32 v71, 0xbe3c28d5, v30
	v_add_f32_e32 v64, v64, v66
	v_fma_f32 v66, 0x3dbcf732, v34, -v68
	v_mul_f32_e32 v68, 0xbf06c442, v35
	v_add_f32_e32 v69, v69, v70
	v_fmamk_f32 v70, v4, 0xbf7ba420, v71
	v_mul_f32_e32 v73, 0x3f06c442, v29
	v_add_f32_e32 v64, v64, v66
	v_fma_f32 v66, 0xbf59a7d5, v37, -v68
	v_fma_f32 v65, 0x3f3d2fb0, v21, -v65
	v_add_f32_e32 v69, v69, v70
	v_fmamk_f32 v70, v19, 0xbf59a7d5, v73
	v_fma_f32 v72, 0x3dbcf732, v22, -v72
	v_add_f32_e32 v64, v64, v66
	v_add_f32_e32 v65, v41, v65
	v_mul_f32_e32 v33, 0xbeb8f4ab, v33
	v_add_f32_e32 v66, v69, v70
	v_add_f32_e32 v69, v41, v51
	v_mul_f32_e32 v32, 0xbf2c7751, v32
	v_add_f32_e32 v65, v65, v72
	v_fma_f32 v72, 0xbf1a4643, v20, -v74
	v_mul_f32_e32 v31, 0xbf65296c, v31
	v_add_f32_e32 v69, v69, v49
	v_fmamk_f32 v76, v22, 0x3f3d2fb0, v32
	v_fma_f32 v22, 0x3f3d2fb0, v22, -v32
	v_add_f32_e32 v65, v65, v72
	v_fmamk_f32 v72, v21, 0x3f6eb680, v33
	v_add_f32_e32 v69, v69, v39
	v_fma_f32 v21, 0x3f6eb680, v21, -v33
	v_fma_f32 v71, 0xbf7ba420, v4, -v71
	v_fmamk_f32 v33, v20, 0x3ee437d1, v31
	v_add_f32_e32 v72, v41, v72
	v_add_f32_e32 v69, v69, v25
	;; [unrolled: 1-line block ×3, first 2 shown]
	v_fma_f32 v20, 0x3ee437d1, v20, -v31
	v_add_f32_e32 v65, v65, v71
	v_fma_f32 v71, 0xbf59a7d5, v19, -v73
	v_add_f32_e32 v69, v69, v17
	v_add_f32_e32 v21, v21, v22
	v_mul_f32_e32 v22, 0xbf763a35, v29
	v_add_f32_e32 v72, v72, v76
	v_mul_f32_e32 v30, 0xbf7ee86f, v30
	v_add_f32_e32 v69, v69, v13
	v_add_f32_e32 v20, v21, v20
	v_mul_f32_e32 v75, 0x3f763a35, v38
	v_add_f32_e32 v32, v65, v71
	v_add_f32_e32 v33, v72, v33
	;; [unrolled: 1-line block ×3, first 2 shown]
	v_fmamk_f32 v65, v4, 0x3dbcf732, v30
	v_fma_f32 v4, 0x3dbcf732, v4, -v30
	v_fmamk_f32 v70, v36, 0xbe8c1d8e, v75
	v_fma_f32 v31, 0xbe8c1d8e, v36, -v75
	v_add_f32_e32 v29, v41, v5
	v_add_f32_e32 v33, v33, v65
	v_fmamk_f32 v41, v19, 0xbe8c1d8e, v22
	v_add_f32_e32 v4, v20, v4
	v_fma_f32 v19, 0xbe8c1d8e, v19, -v22
	v_add_f32_e32 v21, v29, v7
	v_mul_f32_e32 v29, 0xbf4c4adb, v38
	v_add_f32_e32 v66, v66, v70
	v_mul_f32_e32 v70, 0x3f65296c, v53
	v_add_f32_e32 v30, v32, v31
	v_add_f32_e32 v21, v11, v21
	;; [unrolled: 1-line block ×3, first 2 shown]
	v_fmamk_f32 v32, v36, 0xbf1a4643, v29
	v_mul_f32_e32 v20, 0xbf06c442, v53
	v_add_f32_e32 v4, v4, v19
	v_add_f32_e32 v21, v15, v21
	v_fma_f32 v22, 0x3ee437d1, v34, -v70
	v_add_f32_e32 v31, v31, v32
	v_fmamk_f32 v32, v34, 0xbf59a7d5, v20
	v_fma_f32 v20, 0xbf59a7d5, v34, -v20
	v_add_f32_e32 v19, v23, v21
	v_fma_f32 v21, 0xbf1a4643, v36, -v29
	v_add_f32_e32 v22, v30, v22
	v_add_f32_e32 v30, v31, v32
	v_mul_f32_e32 v31, 0xbe3c28d5, v35
	v_add_f32_e32 v19, v27, v19
	v_add_f32_e32 v4, v4, v21
	v_mul_f32_e32 v21, 0x3eb8f4ab, v35
	v_fmamk_f32 v74, v34, 0x3ee437d1, v70
	v_mul_u32_u24_e32 v34, 0x44, v0
	v_add_f32_e32 v19, v43, v19
	v_add_f32_e32 v4, v4, v20
	v_fma_f32 v20, 0xbf7ba420, v37, -v31
	v_fmamk_f32 v33, v37, 0x3f6eb680, v21
	v_fma_f32 v21, 0x3f6eb680, v37, -v21
	v_add_f32_e32 v19, v47, v19
	v_add_f32_e32 v29, v66, v74
	v_fmamk_f32 v32, v37, 0xbf59a7d5, v68
	v_fmamk_f32 v31, v37, 0xbf7ba420, v31
	v_add_f32_e32 v4, v4, v20
	v_add_f32_e32 v19, v45, v19
	v_add3_u32 v20, 0, v34, v1
	v_add_f32_e32 v21, v22, v21
	v_add_f32_e32 v22, v67, v32
	;; [unrolled: 1-line block ×4, first 2 shown]
	ds_write2_b32 v20, v19, v4 offset1:1
	ds_write2_b32 v20, v21, v64 offset0:2 offset1:3
	ds_write2_b32 v20, v63, v62 offset0:4 offset1:5
	;; [unrolled: 1-line block ×7, first 2 shown]
	ds_write_b32 v20, v30 offset:64
.LBB0_12:
	s_or_b32 exec_lo, exec_lo, s1
	v_lshlrev_b32_e32 v4, 2, v0
	s_waitcnt vmcnt(0) lgkmcnt(0)
	s_barrier
	buffer_gl0_inv
	v_add_nc_u32_e32 v58, 0, v4
	v_add3_u32 v41, 0, v1, v4
	v_add_nc_u32_e32 v53, v58, v1
	ds_read_b32 v57, v41
	v_add_nc_u32_e32 v56, 0x200, v53
	v_add_nc_u32_e32 v54, 0x400, v53
	;; [unrolled: 1-line block ×3, first 2 shown]
	ds_read2_b32 v[21:22], v53 offset0:51 offset1:102
	ds_read2_b32 v[19:20], v53 offset0:153 offset1:204
	;; [unrolled: 1-line block ×7, first 2 shown]
	s_waitcnt lgkmcnt(0)
	s_barrier
	buffer_gl0_inv
	s_and_saveexec_b32 s1, s0
	s_cbranch_execz .LBB0_14
; %bb.13:
	v_add_f32_e32 v59, v42, v52
	v_sub_f32_e32 v47, v49, v47
	v_sub_f32_e32 v45, v51, v45
	v_add_f32_e32 v51, v52, v46
	v_add_f32_e32 v52, v50, v48
	;; [unrolled: 1-line block ×3, first 2 shown]
	v_mul_f32_e32 v65, 0xbf2c7751, v47
	v_mul_f32_e32 v50, 0xbeb8f4ab, v45
	;; [unrolled: 1-line block ×4, first 2 shown]
	v_add_f32_e32 v49, v49, v40
	v_mul_f32_e32 v61, 0xbf7ee86f, v45
	v_mul_f32_e32 v62, 0xbf763a35, v45
	;; [unrolled: 1-line block ×4, first 2 shown]
	v_add_f32_e32 v49, v49, v26
	v_mul_f32_e32 v45, 0xbe3c28d5, v45
	v_mul_f32_e32 v66, 0xbf7ee86f, v47
	v_fmamk_f32 v70, v51, 0x3f6eb680, v50
	v_fma_f32 v50, 0x3f6eb680, v51, -v50
	v_add_f32_e32 v49, v49, v18
	v_fmamk_f32 v71, v51, 0x3f3d2fb0, v59
	v_fma_f32 v59, 0x3f3d2fb0, v51, -v59
	v_mul_f32_e32 v68, 0xbe3c28d5, v47
	v_mul_f32_e32 v69, 0x3f06c442, v47
	v_add_f32_e32 v49, v49, v14
	v_fmamk_f32 v72, v51, 0x3ee437d1, v60
	v_fma_f32 v60, 0x3ee437d1, v51, -v60
	v_fmamk_f32 v73, v51, 0x3dbcf732, v61
	v_fma_f32 v61, 0x3dbcf732, v51, -v61
	v_add_f32_e32 v49, v49, v10
	v_fmamk_f32 v74, v51, 0xbe8c1d8e, v62
	v_fma_f32 v62, 0xbe8c1d8e, v51, -v62
	v_fmamk_f32 v75, v51, 0xbf1a4643, v63
	v_fma_f32 v63, 0xbf1a4643, v51, -v63
	;; [unrolled: 5-line block ×4, first 2 shown]
	v_add_f32_e32 v49, v12, v49
	v_add_f32_e32 v70, v42, v70
	v_add_f32_e32 v50, v42, v50
	v_add_f32_e32 v59, v42, v59
	v_add_f32_e32 v71, v42, v71
	v_add_f32_e32 v49, v16, v49
	v_add_f32_e32 v72, v42, v72
	v_add_f32_e32 v60, v42, v60
	v_add_f32_e32 v73, v42, v73
	v_add_f32_e32 v61, v42, v61
	v_add_f32_e32 v49, v24, v49
	v_add_f32_e32 v74, v42, v74
	v_add_f32_e32 v62, v42, v62
	v_add_f32_e32 v75, v42, v75
	v_add_f32_e32 v63, v42, v63
	v_add_f32_e32 v49, v28, v49
	v_add_f32_e32 v76, v42, v76
	v_add_f32_e32 v64, v42, v64
	v_add_f32_e32 v77, v42, v77
	v_add_f32_e32 v42, v42, v45
	v_add_f32_e32 v49, v44, v49
	v_add_f32_e32 v45, v70, v51
	v_add_f32_e32 v51, v59, v66
	v_mul_f32_e32 v66, 0x3f763a35, v47
	v_mul_f32_e32 v67, 0xbf4c4adb, v47
	v_add_f32_e32 v48, v48, v49
	v_add_f32_e32 v49, v50, v65
	v_fma_f32 v65, 0xbf7ba420, v52, -v68
	v_sub_f32_e32 v39, v39, v43
	v_fmamk_f32 v79, v52, 0xbf1a4643, v67
	v_add_f32_e32 v46, v46, v48
	v_fmamk_f32 v48, v52, 0xbf7ba420, v68
	v_fma_f32 v68, 0xbf59a7d5, v52, -v69
	v_add_f32_e32 v61, v61, v65
	v_fmamk_f32 v65, v52, 0xbe8c1d8e, v66
	v_fma_f32 v66, 0xbe8c1d8e, v52, -v66
	v_fma_f32 v67, 0xbf1a4643, v52, -v67
	v_add_f32_e32 v62, v62, v68
	v_mul_f32_e32 v68, 0x3f65296c, v47
	v_mul_f32_e32 v47, 0x3eb8f4ab, v47
	v_add_f32_e32 v63, v63, v66
	v_add_f32_e32 v40, v40, v44
	v_mul_f32_e32 v44, 0xbf65296c, v39
	v_fmamk_f32 v43, v52, 0x3ee437d1, v68
	v_fma_f32 v66, 0x3ee437d1, v52, -v68
	v_fmamk_f32 v68, v52, 0x3f6eb680, v47
	v_fma_f32 v47, 0x3f6eb680, v52, -v47
	v_add_f32_e32 v60, v60, v67
	v_fmamk_f32 v67, v52, 0xbf59a7d5, v69
	v_add_f32_e32 v52, v64, v66
	v_add_f32_e32 v64, v77, v68
	v_fmamk_f32 v66, v40, 0x3ee437d1, v44
	v_mul_f32_e32 v68, 0xbf4c4adb, v39
	v_add_f32_e32 v42, v42, v47
	v_fma_f32 v44, 0x3ee437d1, v40, -v44
	v_mul_f32_e32 v47, 0x3e3c28d5, v39
	v_add_f32_e32 v45, v45, v66
	v_fmamk_f32 v66, v40, 0xbf1a4643, v68
	v_fma_f32 v68, 0xbf1a4643, v40, -v68
	v_add_f32_e32 v44, v49, v44
	v_fmamk_f32 v49, v40, 0xbf7ba420, v47
	v_mul_f32_e32 v69, 0x3f763a35, v39
	v_fma_f32 v47, 0xbf7ba420, v40, -v47
	v_add_f32_e32 v50, v71, v78
	v_add_f32_e32 v59, v72, v79
	;; [unrolled: 1-line block ×3, first 2 shown]
	v_fma_f32 v68, 0xbe8c1d8e, v40, -v69
	v_add_f32_e32 v47, v60, v47
	v_mul_f32_e32 v60, 0xbeb8f4ab, v39
	v_add_f32_e32 v48, v73, v48
	v_add_f32_e32 v50, v50, v66
	;; [unrolled: 1-line block ×3, first 2 shown]
	v_fmamk_f32 v59, v40, 0xbe8c1d8e, v69
	v_mul_f32_e32 v66, 0x3f2c7751, v39
	v_add_f32_e32 v61, v61, v68
	v_fmamk_f32 v68, v40, 0x3f6eb680, v60
	v_mul_f32_e32 v69, 0xbf7ee86f, v39
	v_fma_f32 v60, 0x3f6eb680, v40, -v60
	v_mul_f32_e32 v39, 0xbf06c442, v39
	v_sub_f32_e32 v25, v25, v27
	v_add_f32_e32 v48, v48, v59
	v_fmamk_f32 v59, v40, 0x3f3d2fb0, v66
	v_fma_f32 v66, 0x3f3d2fb0, v40, -v66
	v_add_f32_e32 v60, v63, v60
	v_fma_f32 v27, 0x3dbcf732, v40, -v69
	v_fmamk_f32 v63, v40, 0xbf59a7d5, v39
	v_add_f32_e32 v26, v26, v28
	v_mul_f32_e32 v28, 0xbf7ee86f, v25
	v_add_f32_e32 v62, v62, v66
	v_fmamk_f32 v66, v40, 0x3dbcf732, v69
	v_add_f32_e32 v27, v52, v27
	v_fma_f32 v39, 0xbf59a7d5, v40, -v39
	v_add_f32_e32 v40, v64, v63
	v_mul_f32_e32 v52, 0xbe3c28d5, v25
	v_fmamk_f32 v63, v26, 0x3dbcf732, v28
	v_fma_f32 v28, 0x3dbcf732, v26, -v28
	v_add_f32_e32 v39, v42, v39
	v_mul_f32_e32 v42, 0x3f763a35, v25
	v_fmamk_f32 v64, v26, 0xbf7ba420, v52
	v_add_f32_e32 v45, v45, v63
	v_add_f32_e32 v28, v44, v28
	v_fma_f32 v44, 0xbf7ba420, v26, -v52
	v_fmamk_f32 v52, v26, 0xbe8c1d8e, v42
	v_mul_f32_e32 v63, 0x3eb8f4ab, v25
	v_fma_f32 v42, 0xbe8c1d8e, v26, -v42
	v_add_f32_e32 v50, v50, v64
	v_add_f32_e32 v44, v51, v44
	v_mul_f32_e32 v51, 0xbf65296c, v25
	v_add_f32_e32 v49, v49, v52
	v_fmamk_f32 v52, v26, 0x3f6eb680, v63
	v_add_f32_e32 v42, v47, v42
	v_fma_f32 v47, 0x3f6eb680, v26, -v63
	v_mul_f32_e32 v63, 0xbf06c442, v25
	v_fmamk_f32 v64, v26, 0x3ee437d1, v51
	v_fma_f32 v51, 0x3ee437d1, v26, -v51
	v_add_f32_e32 v43, v76, v43
	v_add_f32_e32 v47, v61, v47
	v_fma_f32 v61, 0xbf59a7d5, v26, -v63
	v_sub_f32_e32 v17, v17, v23
	v_add_f32_e32 v51, v62, v51
	v_mul_f32_e32 v62, 0x3f4c4adb, v25
	v_mul_f32_e32 v25, 0x3f2c7751, v25
	v_add_f32_e32 v43, v43, v66
	v_add_f32_e32 v60, v60, v61
	;; [unrolled: 1-line block ×3, first 2 shown]
	v_fmamk_f32 v23, v26, 0xbf1a4643, v62
	v_fma_f32 v61, 0xbf1a4643, v26, -v62
	v_fmamk_f32 v62, v26, 0x3f3d2fb0, v25
	v_mul_f32_e32 v24, 0xbf763a35, v17
	v_fma_f32 v25, 0x3f3d2fb0, v26, -v25
	v_add_f32_e32 v48, v48, v52
	v_fmamk_f32 v52, v26, 0xbf59a7d5, v63
	v_add_f32_e32 v23, v43, v23
	v_add_f32_e32 v26, v27, v61
	;; [unrolled: 1-line block ×3, first 2 shown]
	v_fmamk_f32 v40, v18, 0xbe8c1d8e, v24
	v_mul_f32_e32 v43, 0x3f06c442, v17
	v_add_f32_e32 v25, v39, v25
	v_fma_f32 v24, 0xbe8c1d8e, v18, -v24
	v_mul_f32_e32 v39, 0x3f2c7751, v17
	v_add_f32_e32 v40, v45, v40
	v_fmamk_f32 v45, v18, 0xbf59a7d5, v43
	v_fma_f32 v43, 0xbf59a7d5, v18, -v43
	v_add_f32_e32 v24, v28, v24
	v_fmamk_f32 v28, v18, 0x3f3d2fb0, v39
	v_mul_f32_e32 v61, 0xbf65296c, v17
	v_add_f32_e32 v45, v50, v45
	v_add_f32_e32 v43, v44, v43
	v_fma_f32 v39, 0x3f3d2fb0, v18, -v39
	v_add_f32_e32 v28, v49, v28
	v_fmamk_f32 v44, v18, 0x3ee437d1, v61
	v_mul_f32_e32 v49, 0xbe3c28d5, v17
	v_fma_f32 v50, 0x3ee437d1, v18, -v61
	v_mul_f32_e32 v61, 0xbeb8f4ab, v17
	v_add_f32_e32 v39, v42, v39
	v_add_f32_e32 v44, v48, v44
	v_fmamk_f32 v48, v18, 0xbf7ba420, v49
	v_fma_f32 v49, 0xbf7ba420, v18, -v49
	v_mul_f32_e32 v42, 0x3f7ee86f, v17
	v_mul_f32_e32 v17, 0xbf4c4adb, v17
	v_sub_f32_e32 v13, v13, v15
	v_fma_f32 v15, 0x3f6eb680, v18, -v61
	v_add_f32_e32 v49, v51, v49
	v_fmamk_f32 v51, v18, 0x3f6eb680, v61
	v_add_f32_e32 v14, v14, v16
	v_mul_f32_e32 v16, 0xbf4c4adb, v13
	v_add_f32_e32 v67, v74, v67
	v_add_f32_e32 v47, v47, v50
	;; [unrolled: 1-line block ×3, first 2 shown]
	v_fmamk_f32 v51, v18, 0xbf1a4643, v17
	v_fma_f32 v17, 0xbf1a4643, v18, -v17
	v_fmamk_f32 v50, v18, 0x3dbcf732, v42
	v_fma_f32 v42, 0x3dbcf732, v18, -v42
	v_add_f32_e32 v15, v26, v15
	v_add_f32_e32 v18, v27, v51
	v_mul_f32_e32 v26, 0x3f763a35, v13
	v_fmamk_f32 v27, v14, 0xbf1a4643, v16
	v_fma_f32 v16, 0xbf1a4643, v14, -v16
	v_add_f32_e32 v17, v25, v17
	v_mul_f32_e32 v25, 0xbeb8f4ab, v13
	v_add_f32_e32 v59, v67, v59
	v_fmamk_f32 v51, v14, 0xbe8c1d8e, v26
	v_add_f32_e32 v16, v24, v16
	v_fma_f32 v24, 0xbe8c1d8e, v14, -v26
	v_fmamk_f32 v26, v14, 0x3f6eb680, v25
	v_add_f32_e32 v59, v59, v64
	v_add_f32_e32 v27, v40, v27
	;; [unrolled: 1-line block ×3, first 2 shown]
	v_mul_f32_e32 v45, 0xbf06c442, v13
	v_fma_f32 v25, 0x3f6eb680, v14, -v25
	v_add_f32_e32 v26, v28, v26
	v_mul_f32_e32 v28, 0x3f7ee86f, v13
	v_add_f32_e32 v48, v59, v48
	v_add_f32_e32 v24, v43, v24
	v_fmamk_f32 v43, v14, 0xbf59a7d5, v45
	v_add_f32_e32 v25, v39, v25
	v_fma_f32 v39, 0xbf59a7d5, v14, -v45
	v_mul_f32_e32 v45, 0xbf2c7751, v13
	v_fmamk_f32 v51, v14, 0x3dbcf732, v28
	v_add_f32_e32 v42, v60, v42
	v_add_f32_e32 v43, v44, v43
	;; [unrolled: 1-line block ×3, first 2 shown]
	v_fmamk_f32 v44, v14, 0x3f3d2fb0, v45
	v_add_f32_e32 v47, v48, v51
	v_fma_f32 v45, 0x3f3d2fb0, v14, -v45
	v_mul_f32_e32 v48, 0xbe3c28d5, v13
	v_mul_f32_e32 v13, 0x3f65296c, v13
	v_sub_f32_e32 v9, v9, v11
	v_add_f32_e32 v65, v75, v65
	v_add_f32_e32 v42, v42, v45
	v_fmamk_f32 v11, v14, 0xbf7ba420, v48
	v_fma_f32 v45, 0xbf7ba420, v14, -v48
	v_fmamk_f32 v48, v14, 0x3ee437d1, v13
	v_add_f32_e32 v10, v10, v12
	v_mul_f32_e32 v12, 0xbf06c442, v9
	v_fma_f32 v13, 0x3ee437d1, v14, -v13
	v_add_f32_e32 v65, v65, v68
	v_fma_f32 v28, 0x3dbcf732, v14, -v28
	v_add_f32_e32 v11, v23, v11
	v_add_f32_e32 v14, v15, v45
	;; [unrolled: 1-line block ×3, first 2 shown]
	v_fmamk_f32 v18, v10, 0xbf59a7d5, v12
	v_mul_f32_e32 v23, 0x3f65296c, v9
	v_add_f32_e32 v13, v17, v13
	v_fma_f32 v12, 0xbf59a7d5, v10, -v12
	v_mul_f32_e32 v17, 0xbf7ee86f, v9
	v_add_f32_e32 v52, v65, v52
	v_add_f32_e32 v18, v27, v18
	v_fmamk_f32 v27, v10, 0x3ee437d1, v23
	v_fma_f32 v23, 0x3ee437d1, v10, -v23
	v_add_f32_e32 v12, v16, v12
	v_fmamk_f32 v16, v10, 0x3dbcf732, v17
	v_mul_f32_e32 v45, 0x3f4c4adb, v9
	v_fma_f32 v17, 0x3dbcf732, v10, -v17
	v_add_f32_e32 v50, v52, v50
	v_add_f32_e32 v27, v40, v27
	;; [unrolled: 1-line block ×4, first 2 shown]
	v_fmamk_f32 v24, v10, 0xbf1a4643, v45
	v_mul_f32_e32 v26, 0xbeb8f4ab, v9
	v_fma_f32 v40, 0xbf1a4643, v10, -v45
	v_add_f32_e32 v17, v25, v17
	v_mul_f32_e32 v25, 0xbe3c28d5, v9
	v_add_f32_e32 v28, v49, v28
	v_add_f32_e32 v44, v50, v44
	v_add_f32_e32 v24, v43, v24
	v_fmamk_f32 v43, v10, 0x3f6eb680, v26
	v_add_f32_e32 v39, v39, v40
	v_fma_f32 v26, 0x3f6eb680, v10, -v26
	v_fmamk_f32 v40, v10, 0xbf7ba420, v25
	v_mul_f32_e32 v45, 0x3f2c7751, v9
	v_mul_f32_e32 v9, 0xbf763a35, v9
	v_sub_f32_e32 v5, v5, v7
	v_add_f32_e32 v26, v28, v26
	v_add_f32_e32 v28, v44, v40
	v_fmamk_f32 v40, v10, 0x3f3d2fb0, v45
	v_fma_f32 v7, 0x3f3d2fb0, v10, -v45
	v_add_f32_e32 v6, v6, v8
	v_mul_f32_e32 v8, 0xbe3c28d5, v5
	v_fma_f32 v25, 0xbf7ba420, v10, -v25
	v_add_f32_e32 v11, v11, v40
	v_fmamk_f32 v40, v10, 0xbe8c1d8e, v9
	v_fma_f32 v9, 0xbe8c1d8e, v10, -v9
	v_add_f32_e32 v7, v14, v7
	v_mul_f32_e32 v14, 0x3eb8f4ab, v5
	v_add_f32_e32 v25, v42, v25
	v_add_f32_e32 v10, v15, v40
	v_fmamk_f32 v15, v6, 0xbf7ba420, v8
	v_fma_f32 v8, 0xbf7ba420, v6, -v8
	v_add_f32_e32 v9, v13, v9
	v_mul_f32_e32 v13, 0xbf06c442, v5
	v_fmamk_f32 v40, v6, 0x3f6eb680, v14
	v_add_f32_e32 v15, v18, v15
	v_add_f32_e32 v8, v12, v8
	v_fma_f32 v12, 0x3f6eb680, v6, -v14
	v_fmamk_f32 v14, v6, 0xbf59a7d5, v13
	v_add_f32_e32 v18, v27, v40
	v_mul_f32_e32 v27, 0x3f2c7751, v5
	v_fma_f32 v13, 0xbf59a7d5, v6, -v13
	v_add_f32_e32 v12, v23, v12
	v_add_f32_e32 v14, v16, v14
	v_mul_f32_e32 v16, 0xbf4c4adb, v5
	v_fmamk_f32 v23, v6, 0x3f3d2fb0, v27
	v_add_f32_e32 v13, v17, v13
	v_fma_f32 v17, 0x3f3d2fb0, v6, -v27
	v_mul_f32_e32 v27, 0x3f65296c, v5
	v_fmamk_f32 v40, v6, 0xbf1a4643, v16
	v_fma_f32 v16, 0xbf1a4643, v6, -v16
	v_add_f32_e32 v23, v24, v23
	v_add_f32_e32 v43, v47, v43
	v_fmamk_f32 v24, v6, 0x3ee437d1, v27
	v_fma_f32 v27, 0x3ee437d1, v6, -v27
	v_add_f32_e32 v16, v26, v16
	v_mul_f32_e32 v26, 0xbf763a35, v5
	v_mul_f32_e32 v5, 0x3f7ee86f, v5
	v_add_f32_e32 v24, v28, v24
	v_add_f32_e32 v25, v25, v27
	v_lshlrev_b32_e32 v27, 6, v0
	v_fmamk_f32 v28, v6, 0xbe8c1d8e, v26
	v_add_f32_e32 v17, v39, v17
	v_add_f32_e32 v39, v43, v40
	v_fmamk_f32 v40, v6, 0x3dbcf732, v5
	v_fma_f32 v5, 0x3dbcf732, v6, -v5
	v_fma_f32 v26, 0xbe8c1d8e, v6, -v26
	v_add3_u32 v6, v58, v27, v1
	v_add_f32_e32 v11, v11, v28
	v_add_f32_e32 v10, v10, v40
	;; [unrolled: 1-line block ×4, first 2 shown]
	ds_write2_b32 v6, v46, v15 offset1:1
	ds_write2_b32 v6, v18, v14 offset0:2 offset1:3
	ds_write2_b32 v6, v23, v39 offset0:4 offset1:5
	;; [unrolled: 1-line block ×7, first 2 shown]
	ds_write_b32 v6, v8 offset:64
.LBB0_14:
	s_or_b32 exec_lo, exec_lo, s1
	v_and_b32_e32 v5, 0xff, v0
	v_add_nc_u32_e32 v26, 51, v0
	v_add_nc_u32_e32 v25, 0x66, v0
	;; [unrolled: 1-line block ×4, first 2 shown]
	v_mul_lo_u16 v5, 0xf1, v5
	v_and_b32_e32 v6, 0xff, v26
	v_and_b32_e32 v52, 0xff, v25
	v_and_b32_e32 v7, 0xff, v24
	v_mov_b32_e32 v27, 4
	v_lshrrev_b16 v18, 12, v5
	v_mul_lo_u16 v5, 0xf1, v6
	v_mul_lo_u16 v8, 0xf1, v52
	s_waitcnt lgkmcnt(0)
	s_barrier
	v_mul_lo_u16 v6, v18, 17
	v_lshrrev_b16 v68, 12, v5
	v_and_b32_e32 v5, 0xff, v23
	v_lshrrev_b16 v70, 12, v8
	buffer_gl0_inv
	v_sub_nc_u16 v69, v0, v6
	v_mul_lo_u16 v6, 0xf1, v7
	v_mul_lo_u16 v5, 0xf1, v5
	;; [unrolled: 1-line block ×4, first 2 shown]
	v_lshlrev_b32_sdwa v8, v27, v69 dst_sel:DWORD dst_unused:UNUSED_PAD src0_sel:DWORD src1_sel:BYTE_0
	v_lshrrev_b16 v71, 12, v6
	v_lshrrev_b16 v73, 12, v5
	v_sub_nc_u16 v74, v25, v10
	v_sub_nc_u16 v72, v26, v7
	global_load_dwordx4 v[6:9], v8, s[8:9]
	v_mul_lo_u16 v5, v71, 17
	v_mul_lo_u16 v14, v73, 17
	v_mov_b32_e32 v78, 2
	v_lshlrev_b32_sdwa v10, v27, v72 dst_sel:DWORD dst_unused:UNUSED_PAD src0_sel:DWORD src1_sel:BYTE_0
	v_and_b32_e32 v18, 0xffff, v18
	v_sub_nc_u16 v75, v24, v5
	v_lshlrev_b32_sdwa v5, v27, v74 dst_sel:DWORD dst_unused:UNUSED_PAD src0_sel:DWORD src1_sel:BYTE_0
	v_sub_nc_u16 v76, v23, v14
	global_load_dwordx4 v[10:13], v10, s[8:9]
	v_lshlrev_b32_sdwa v69, v78, v69 dst_sel:DWORD dst_unused:UNUSED_PAD src0_sel:DWORD src1_sel:BYTE_0
	v_lshlrev_b32_sdwa v28, v27, v75 dst_sel:DWORD dst_unused:UNUSED_PAD src0_sel:DWORD src1_sel:BYTE_0
	global_load_dwordx4 v[14:17], v5, s[8:9]
	v_lshlrev_b32_sdwa v5, v27, v76 dst_sel:DWORD dst_unused:UNUSED_PAD src0_sel:DWORD src1_sel:BYTE_0
	s_clause 0x1
	global_load_dwordx4 v[42:45], v28, s[8:9]
	global_load_dwordx4 v[46:49], v5, s[8:9]
	ds_read_b32 v77, v41
	ds_read2_b32 v[27:28], v56 offset0:127 offset1:178
	ds_read2_b32 v[39:40], v54 offset0:203 offset1:254
	v_mov_b32_e32 v5, 0
	ds_read2_b32 v[50:51], v53 offset0:51 offset1:102
	ds_read2_b32 v[58:59], v55 offset0:49 offset1:100
	;; [unrolled: 1-line block ×5, first 2 shown]
	s_waitcnt vmcnt(0) lgkmcnt(0)
	s_barrier
	v_lshlrev_b64 v[64:65], 3, v[4:5]
	v_mul_lo_u16 v4, 0xa1, v52
	buffer_gl0_inv
	v_lshrrev_b16 v52, 13, v4
	v_mad_u32_u24 v4, 0xcc, v18, 0
	v_and_b32_e32 v18, 0xffff, v68
	v_and_b32_e32 v68, 0xffff, v70
	;; [unrolled: 1-line block ×4, first 2 shown]
	v_add3_u32 v69, v4, v69, v1
	v_mad_u32_u24 v18, 0xcc, v18, 0
	v_mad_u32_u24 v68, 0xcc, v68, 0
	v_lshlrev_b32_sdwa v4, v78, v72 dst_sel:DWORD dst_unused:UNUSED_PAD src0_sel:DWORD src1_sel:BYTE_0
	v_lshlrev_b32_sdwa v72, v78, v74 dst_sel:DWORD dst_unused:UNUSED_PAD src0_sel:DWORD src1_sel:BYTE_0
	v_mad_u32_u24 v70, 0xcc, v70, 0
	v_mad_u32_u24 v71, 0xcc, v71, 0
	v_lshlrev_b32_sdwa v73, v78, v75 dst_sel:DWORD dst_unused:UNUSED_PAD src0_sel:DWORD src1_sel:BYTE_0
	v_lshlrev_b32_sdwa v74, v78, v76 dst_sel:DWORD dst_unused:UNUSED_PAD src0_sel:DWORD src1_sel:BYTE_0
	v_add3_u32 v18, v18, v4, v1
	v_add3_u32 v68, v68, v72, v1
	v_add_co_u32 v64, s0, s8, v64
	v_add3_u32 v70, v70, v73, v1
	v_add3_u32 v71, v71, v74, v1
	v_add_co_ci_u32_e64 v65, s0, s9, v65, s0
	v_mul_f32_e32 v4, v27, v7
	v_mul_f32_e32 v7, v37, v7
	;; [unrolled: 1-line block ×4, first 2 shown]
	v_fma_f32 v4, v37, v6, -v4
	v_fmac_f32_e32 v7, v27, v6
	v_fma_f32 v6, v30, v8, -v72
	v_fmac_f32_e32 v9, v40, v8
	v_mul_f32_e32 v8, v28, v11
	v_mul_f32_e32 v11, v38, v11
	;; [unrolled: 1-line block ×16, first 2 shown]
	v_fma_f32 v8, v38, v10, -v8
	v_fmac_f32_e32 v11, v28, v10
	v_fma_f32 v10, v35, v12, -v27
	v_fmac_f32_e32 v13, v58, v12
	v_fma_f32 v12, v33, v14, -v30
	v_fma_f32 v28, v29, v46, -v73
	;; [unrolled: 1-line block ×3, first 2 shown]
	v_add_f32_e32 v30, v57, v4
	v_sub_f32_e32 v32, v7, v9
	v_add_f32_e32 v33, v77, v7
	v_add_f32_e32 v7, v7, v9
	v_fmac_f32_e32 v15, v60, v14
	v_fma_f32 v14, v36, v16, -v37
	v_fmac_f32_e32 v17, v59, v16
	v_fma_f32 v16, v34, v42, -v40
	;; [unrolled: 2-line block ×3, first 2 shown]
	v_fmac_f32_e32 v45, v66, v44
	v_add_f32_e32 v31, v4, v6
	v_sub_f32_e32 v4, v4, v6
	v_add_f32_e32 v6, v30, v6
	v_fmac_f32_e32 v77, -0.5, v7
	v_add_f32_e32 v7, v21, v8
	v_add_f32_e32 v30, v8, v10
	v_fmac_f32_e32 v47, v39, v46
	v_fmac_f32_e32 v49, v67, v48
	v_fmac_f32_e32 v57, -0.5, v31
	v_add_f32_e32 v9, v33, v9
	v_sub_f32_e32 v31, v11, v13
	v_add_f32_e32 v33, v50, v11
	v_add_f32_e32 v11, v11, v13
	v_add_f32_e32 v35, v12, v14
	v_sub_f32_e32 v36, v15, v17
	v_add_f32_e32 v37, v51, v15
	v_add_f32_e32 v15, v15, v17
	;; [unrolled: 4-line block ×3, first 2 shown]
	v_add_f32_e32 v46, v28, v29
	v_add_f32_e32 v34, v22, v12
	;; [unrolled: 1-line block ×3, first 2 shown]
	v_fmamk_f32 v60, v4, 0xbf5db3d7, v77
	v_fmac_f32_e32 v77, 0x3f5db3d7, v4
	v_add_f32_e32 v4, v7, v10
	v_fma_f32 v7, -0.5, v30, v21
	v_sub_f32_e32 v8, v8, v10
	v_sub_f32_e32 v16, v16, v27
	v_add_f32_e32 v44, v20, v28
	v_sub_f32_e32 v48, v47, v49
	v_fma_f32 v11, -0.5, v11, v50
	v_fmac_f32_e32 v22, -0.5, v35
	v_fmac_f32_e32 v51, -0.5, v15
	v_add_f32_e32 v15, v38, v27
	v_fma_f32 v27, -0.5, v43, v62
	v_fmac_f32_e32 v20, -0.5, v46
	v_sub_f32_e32 v12, v12, v14
	v_fmamk_f32 v59, v32, 0x3f5db3d7, v57
	v_add_f32_e32 v10, v33, v13
	v_add_f32_e32 v13, v34, v14
	;; [unrolled: 1-line block ×3, first 2 shown]
	v_fma_f32 v17, -0.5, v39, v19
	v_fmac_f32_e32 v57, 0xbf5db3d7, v32
	v_fmamk_f32 v30, v31, 0x3f5db3d7, v7
	v_fmac_f32_e32 v7, 0xbf5db3d7, v31
	v_add_f32_e32 v19, v42, v45
	v_add_f32_e32 v21, v44, v29
	v_fmamk_f32 v42, v8, 0xbf5db3d7, v11
	v_fmac_f32_e32 v11, 0x3f5db3d7, v8
	v_fmamk_f32 v8, v36, 0x3f5db3d7, v22
	v_fmamk_f32 v44, v16, 0xbf5db3d7, v27
	v_fmac_f32_e32 v27, 0x3f5db3d7, v16
	v_fmamk_f32 v16, v48, 0x3f5db3d7, v20
	v_add_f32_e32 v58, v63, v47
	v_add_f32_e32 v47, v47, v49
	v_fmac_f32_e32 v22, 0xbf5db3d7, v36
	v_fmamk_f32 v43, v12, 0xbf5db3d7, v51
	v_fmac_f32_e32 v51, 0x3f5db3d7, v12
	v_fmamk_f32 v12, v40, 0x3f5db3d7, v17
	v_fmac_f32_e32 v17, 0xbf5db3d7, v40
	v_fmac_f32_e32 v20, 0xbf5db3d7, v48
	ds_write2_b32 v69, v6, v59 offset1:17
	ds_write_b32 v69, v57 offset:136
	ds_write2_b32 v18, v4, v30 offset1:17
	ds_write_b32 v18, v7 offset:136
	;; [unrolled: 2-line block ×5, first 2 shown]
	v_mul_lo_u16 v16, v52, 51
	v_sub_f32_e32 v28, v28, v29
	v_fmac_f32_e32 v63, -0.5, v47
	v_mov_b32_e32 v17, 5
	v_add_f32_e32 v29, v58, v49
	v_sub_nc_u16 v22, v25, v16
	s_waitcnt lgkmcnt(0)
	v_fmamk_f32 v45, v28, 0xbf5db3d7, v63
	v_fmac_f32_e32 v63, 0x3f5db3d7, v28
	s_barrier
	buffer_gl0_inv
	ds_read_b32 v4, v41
	ds_read2_b32 v[20:21], v53 offset0:153 offset1:204
	ds_read2_b32 v[31:32], v56 offset0:127 offset1:178
	;; [unrolled: 1-line block ×7, first 2 shown]
	s_waitcnt lgkmcnt(0)
	s_barrier
	buffer_gl0_inv
	ds_write2_b32 v69, v9, v60 offset1:17
	ds_write_b32 v69, v77 offset:136
	ds_write2_b32 v18, v10, v42 offset1:17
	ds_write_b32 v18, v11 offset:136
	;; [unrolled: 2-line block ×5, first 2 shown]
	v_lshlrev_b32_sdwa v27, v17, v22 dst_sel:DWORD dst_unused:UNUSED_PAD src0_sel:DWORD src1_sel:BYTE_0
	s_waitcnt lgkmcnt(0)
	s_barrier
	buffer_gl0_inv
	s_clause 0x3
	global_load_dwordx4 v[8:11], v[64:65], off offset:272
	global_load_dwordx4 v[12:15], v[64:65], off offset:288
	global_load_dwordx4 v[16:19], v27, s[8:9] offset:272
	global_load_dwordx4 v[27:30], v27, s[8:9] offset:288
	ds_read2_b32 v[42:43], v53 offset0:153 offset1:204
	ds_read2_b32 v[44:45], v56 offset0:127 offset1:178
	;; [unrolled: 1-line block ×6, first 2 shown]
	ds_read_b32 v61, v41
	ds_read2_b32 v[59:60], v53 offset0:51 offset1:102
	v_lshlrev_b32_sdwa v22, v78, v22 dst_sel:DWORD dst_unused:UNUSED_PAD src0_sel:DWORD src1_sel:BYTE_0
	s_waitcnt vmcnt(0) lgkmcnt(0)
	s_barrier
	buffer_gl0_inv
	v_add3_u32 v1, 0, v22, v1
	v_add_nc_u32_e32 v22, 0x600, v1
	v_add_nc_u32_e32 v52, 0x800, v1
	v_mul_f32_e32 v62, v42, v9
	v_mul_f32_e32 v64, v45, v11
	;; [unrolled: 1-line block ×24, first 2 shown]
	v_fma_f32 v20, v20, v8, -v62
	v_fma_f32 v32, v32, v10, -v64
	;; [unrolled: 1-line block ×4, first 2 shown]
	v_fmac_f32_e32 v63, v42, v8
	v_fmac_f32_e32 v65, v45, v10
	;; [unrolled: 1-line block ×4, first 2 shown]
	v_fma_f32 v21, v21, v8, -v70
	v_fmac_f32_e32 v9, v43, v8
	v_fma_f32 v8, v37, v10, -v71
	v_fmac_f32_e32 v11, v50, v10
	;; [unrolled: 2-line block ×8, first 2 shown]
	v_add_f32_e32 v29, v4, v20
	v_add_f32_e32 v31, v32, v33
	v_sub_f32_e32 v37, v20, v32
	v_sub_f32_e32 v38, v36, v33
	v_add_f32_e32 v39, v20, v36
	v_sub_f32_e32 v40, v32, v20
	v_sub_f32_e32 v42, v33, v36
	;; [unrolled: 3-line block ×3, first 2 shown]
	v_add_f32_e32 v51, v6, v21
	v_add_f32_e32 v57, v8, v10
	;; [unrolled: 1-line block ×7, first 2 shown]
	v_sub_f32_e32 v34, v63, v69
	v_sub_f32_e32 v45, v32, v33
	v_add_f32_e32 v48, v63, v69
	v_sub_f32_e32 v49, v65, v63
	v_sub_f32_e32 v63, v21, v8
	;; [unrolled: 1-line block ×3, first 2 shown]
	v_add_f32_e32 v76, v9, v15
	v_sub_f32_e32 v80, v17, v30
	v_add_f32_e32 v87, v60, v17
	v_add_f32_e32 v88, v19, v28
	v_sub_f32_e32 v90, v17, v19
	v_add_f32_e32 v29, v29, v32
	;; [unrolled: 3-line block ×3, first 2 shown]
	v_sub_f32_e32 v38, v28, v30
	v_fma_f32 v31, -0.5, v31, v4
	v_sub_f32_e32 v35, v65, v67
	v_fmac_f32_e32 v4, -0.5, v39
	v_sub_f32_e32 v58, v9, v15
	v_sub_f32_e32 v62, v11, v13
	;; [unrolled: 1-line block ×4, first 2 shown]
	v_add_f32_e32 v39, v40, v42
	v_add_f32_e32 v40, v43, v65
	;; [unrolled: 1-line block ×4, first 2 shown]
	v_fma_f32 v46, -0.5, v57, v6
	v_fma_f32 v6, -0.5, v66, v6
	v_add_f32_e32 v72, v11, v13
	v_sub_f32_e32 v74, v9, v11
	v_sub_f32_e32 v9, v11, v9
	;; [unrolled: 1-line block ×6, first 2 shown]
	v_add_f32_e32 v11, v71, v11
	v_add_f32_e32 v16, v78, v16
	v_fma_f32 v57, -0.5, v79, v7
	v_fmac_f32_e32 v7, -0.5, v84
	v_add_f32_e32 v44, v65, v67
	v_sub_f32_e32 v70, v10, v12
	v_add_f32_e32 v47, v63, v64
	v_fma_f32 v51, -0.5, v76, v59
	v_fma_f32 v64, -0.5, v88, v60
	v_fmac_f32_e32 v60, -0.5, v32
	v_add_f32_e32 v32, v17, v38
	v_add_f32_e32 v17, v29, v33
	v_fmamk_f32 v29, v34, 0x3f737871, v31
	v_fmamk_f32 v33, v35, 0xbf737871, v4
	v_fmac_f32_e32 v4, 0x3f737871, v35
	v_fmac_f32_e32 v31, 0xbf737871, v34
	v_sub_f32_e32 v50, v67, v69
	v_add_f32_e32 v38, v40, v67
	v_add_f32_e32 v8, v8, v10
	v_fmamk_f32 v10, v58, 0x3f737871, v46
	v_fmamk_f32 v67, v62, 0xbf737871, v6
	v_sub_f32_e32 v75, v15, v13
	v_sub_f32_e32 v77, v13, v15
	v_sub_f32_e32 v83, v27, v18
	v_sub_f32_e32 v86, v18, v27
	v_fmac_f32_e32 v46, 0xbf737871, v58
	v_fmac_f32_e32 v6, 0x3f737871, v62
	v_add_f32_e32 v11, v11, v13
	v_add_f32_e32 v13, v16, v18
	v_fmamk_f32 v16, v80, 0x3f737871, v57
	v_fmamk_f32 v18, v81, 0xbf737871, v7
	v_fmac_f32_e32 v7, 0x3f737871, v81
	v_sub_f32_e32 v21, v21, v12
	v_fma_f32 v42, -0.5, v44, v61
	v_fmac_f32_e32 v61, -0.5, v48
	v_add_f32_e32 v48, v68, v70
	v_fmamk_f32 v70, v73, 0x3f737871, v51
	v_fmac_f32_e32 v51, 0xbf737871, v73
	v_fmac_f32_e32 v57, 0xbf737871, v80
	;; [unrolled: 1-line block ×8, first 2 shown]
	v_add_f32_e32 v44, v49, v50
	v_fma_f32 v49, -0.5, v72, v59
	v_add_f32_e32 v59, v82, v83
	v_add_f32_e32 v63, v85, v86
	v_fmac_f32_e32 v46, 0xbf167918, v62
	v_fmac_f32_e32 v6, 0xbf167918, v58
	;; [unrolled: 1-line block ×5, first 2 shown]
	v_sub_f32_e32 v20, v20, v36
	v_sub_f32_e32 v14, v14, v27
	v_add_f32_e32 v9, v9, v77
	v_add_f32_e32 v19, v87, v19
	v_fmamk_f32 v66, v45, 0x3f737871, v61
	v_fmac_f32_e32 v61, 0xbf737871, v45
	v_fmamk_f32 v72, v89, 0x3f737871, v60
	v_fmac_f32_e32 v60, 0xbf737871, v89
	v_add_f32_e32 v17, v17, v36
	v_fmac_f32_e32 v70, 0xbf167918, v21
	v_fmac_f32_e32 v51, 0x3f167918, v21
	v_fmac_f32_e32 v57, 0xbf167918, v81
	v_fmac_f32_e32 v29, 0x3e9e377a, v37
	v_fmac_f32_e32 v33, 0x3e9e377a, v39
	v_fmac_f32_e32 v4, 0x3e9e377a, v39
	v_add_f32_e32 v8, v8, v12
	v_fmac_f32_e32 v31, 0x3e9e377a, v37
	v_fmac_f32_e32 v10, 0x3e9e377a, v47
	;; [unrolled: 1-line block ×3, first 2 shown]
	v_add_f32_e32 v35, v11, v15
	v_add_f32_e32 v11, v13, v27
	v_fmac_f32_e32 v46, 0x3e9e377a, v47
	v_fmac_f32_e32 v6, 0x3e9e377a, v48
	v_fmac_f32_e32 v16, 0x3e9e377a, v59
	v_fmac_f32_e32 v18, 0x3e9e377a, v63
	v_fmac_f32_e32 v7, 0x3e9e377a, v63
	v_sub_f32_e32 v91, v30, v28
	v_fmamk_f32 v40, v20, 0xbf737871, v42
	v_fmac_f32_e32 v42, 0x3f737871, v20
	v_add_f32_e32 v28, v19, v28
	v_fmamk_f32 v71, v14, 0xbf737871, v64
	v_fmac_f32_e32 v64, 0x3f737871, v14
	v_fmac_f32_e32 v66, 0xbf167918, v20
	;; [unrolled: 1-line block ×8, first 2 shown]
	ds_write2_b32 v53, v17, v29 offset1:51
	ds_write2_b32 v53, v33, v4 offset0:102 offset1:153
	ds_write2_b32 v53, v31, v8 offset0:204 offset1:255
	ds_write2_b32 v54, v10, v67 offset0:50 offset1:101
	ds_write2_b32 v54, v6, v46 offset0:152 offset1:203
	ds_write2_b32 v22, v11, v16 offset0:126 offset1:177
	ds_write2_b32 v52, v18, v7 offset0:100 offset1:151
	ds_write_b32 v1, v57 offset:2856
	s_waitcnt lgkmcnt(0)
	s_barrier
	buffer_gl0_inv
	ds_read_b32 v20, v41
	ds_read2_b32 v[8:9], v56 offset0:127 offset1:178
	ds_read2_b32 v[10:11], v54 offset0:203 offset1:254
	;; [unrolled: 1-line block ×7, first 2 shown]
	v_fmamk_f32 v68, v21, 0xbf737871, v49
	v_fmac_f32_e32 v49, 0x3f737871, v21
	v_fmac_f32_e32 v40, 0xbf167918, v45
	;; [unrolled: 1-line block ×3, first 2 shown]
	v_add_f32_e32 v50, v74, v75
	v_fmac_f32_e32 v68, 0xbf167918, v73
	v_fmac_f32_e32 v49, 0x3f167918, v73
	v_add_f32_e32 v65, v90, v91
	v_add_f32_e32 v34, v38, v69
	v_fmac_f32_e32 v71, 0xbf167918, v89
	v_fmac_f32_e32 v64, 0x3f167918, v89
	;; [unrolled: 1-line block ×8, first 2 shown]
	v_add_f32_e32 v4, v28, v30
	v_fmac_f32_e32 v71, 0x3e9e377a, v65
	v_fmac_f32_e32 v64, 0x3e9e377a, v65
	;; [unrolled: 1-line block ×4, first 2 shown]
	s_waitcnt lgkmcnt(0)
	s_barrier
	buffer_gl0_inv
	ds_write2_b32 v53, v34, v40 offset1:51
	ds_write2_b32 v53, v66, v61 offset0:102 offset1:153
	ds_write2_b32 v53, v42, v35 offset0:204 offset1:255
	;; [unrolled: 1-line block ×6, first 2 shown]
	ds_write_b32 v1, v64 offset:2856
	s_waitcnt lgkmcnt(0)
	s_barrier
	buffer_gl0_inv
	s_and_saveexec_b32 s0, vcc_lo
	s_cbranch_execz .LBB0_16
; %bb.15:
	v_lshlrev_b32_e32 v4, 1, v23
	v_add_nc_u32_e32 v50, 0x800, v53
	v_mul_hi_u32 v56, 0x80808081, v25
	v_mul_hi_u32 v57, 0x80808081, v24
	;; [unrolled: 1-line block ×3, first 2 shown]
	v_lshlrev_b64 v[21:22], 3, v[4:5]
	v_lshlrev_b32_e32 v4, 1, v24
	v_add_nc_u32_e32 v52, 0x200, v53
	v_mov_b32_e32 v1, v5
	v_lshrrev_b32_e32 v59, 7, v57
	v_add_co_u32 v21, vcc_lo, s8, v21
	v_lshlrev_b64 v[31:32], 3, v[4:5]
	v_add_co_ci_u32_e32 v22, vcc_lo, s9, v22, vcc_lo
	v_lshlrev_b32_e32 v4, 1, v25
	v_lshrrev_b32_e32 v62, 7, v58
	global_load_dwordx4 v[27:30], v[21:22], off offset:1904
	v_add_co_u32 v21, vcc_lo, s8, v31
	v_add_co_ci_u32_e32 v22, vcc_lo, s9, v32, vcc_lo
	global_load_dwordx4 v[31:34], v[21:22], off offset:1904
	v_lshlrev_b64 v[21:22], 3, v[4:5]
	v_lshlrev_b32_e32 v4, 1, v26
	v_add_co_u32 v21, vcc_lo, s8, v21
	v_add_co_ci_u32_e32 v22, vcc_lo, s9, v22, vcc_lo
	global_load_dwordx4 v[35:38], v[21:22], off offset:1904
	v_lshlrev_b64 v[21:22], 3, v[4:5]
	v_lshlrev_b32_e32 v4, 1, v0
	v_lshlrev_b64 v[0:1], 3, v[0:1]
	v_add_co_u32 v21, vcc_lo, s8, v21
	v_add_co_ci_u32_e32 v22, vcc_lo, s9, v22, vcc_lo
	global_load_dwordx4 v[42:45], v[21:22], off offset:1904
	v_lshlrev_b64 v[21:22], 3, v[4:5]
	v_add_nc_u32_e32 v4, 0x400, v53
	v_add_co_u32 v21, vcc_lo, s8, v21
	v_add_co_ci_u32_e32 v22, vcc_lo, s9, v22, vcc_lo
	v_add_co_u32 v54, vcc_lo, s2, v2
	v_add_co_ci_u32_e32 v55, vcc_lo, s3, v3, vcc_lo
	global_load_dwordx4 v[46:49], v[21:22], off offset:1904
	ds_read2_b32 v[21:22], v53 offset0:153 offset1:204
	ds_read2_b32 v[39:40], v53 offset0:51 offset1:102
	ds_read_b32 v41, v41
	ds_read2_b32 v[2:3], v4 offset0:203 offset1:254
	ds_read2_b32 v[23:24], v50 offset0:151 offset1:202
	;; [unrolled: 1-line block ×5, first 2 shown]
	v_lshrrev_b32_e32 v4, 7, v56
	v_add_co_u32 v0, vcc_lo, v54, v0
	v_add_co_ci_u32_e32 v1, vcc_lo, v55, v1, vcc_lo
	v_mul_u32_u24_e32 v4, 0x1fe, v4
	v_add_co_u32 v54, vcc_lo, 0x800, v0
	v_add_co_ci_u32_e32 v55, vcc_lo, 0, v1, vcc_lo
	v_lshlrev_b64 v[56:57], 3, v[4:5]
	v_mul_u32_u24_e32 v4, 0x1fe, v59
	v_add_co_u32 v58, vcc_lo, 0x1000, v0
	v_add_co_ci_u32_e32 v59, vcc_lo, 0, v1, vcc_lo
	v_add_co_u32 v56, vcc_lo, v0, v56
	v_lshlrev_b64 v[60:61], 3, v[4:5]
	v_add_co_ci_u32_e32 v57, vcc_lo, v1, v57, vcc_lo
	v_mul_u32_u24_e32 v4, 0x1fe, v62
	v_add_co_u32 v62, vcc_lo, 0x330, v56
	v_add_co_ci_u32_e32 v63, vcc_lo, 0, v57, vcc_lo
	v_add_co_u32 v60, vcc_lo, v0, v60
	v_add_co_ci_u32_e32 v61, vcc_lo, v1, v61, vcc_lo
	v_lshlrev_b64 v[4:5], 3, v[4:5]
	v_add_co_u32 v64, vcc_lo, 0x1000, v56
	v_add_co_ci_u32_e32 v65, vcc_lo, 0, v57, vcc_lo
	v_add_co_u32 v66, vcc_lo, 0x4c8, v60
	v_add_co_ci_u32_e32 v67, vcc_lo, 0, v61, vcc_lo
	;; [unrolled: 2-line block ×6, first 2 shown]
	s_waitcnt vmcnt(4) lgkmcnt(4)
	v_mul_f32_e32 v74, v2, v28
	s_waitcnt lgkmcnt(3)
	v_mul_f32_e32 v75, v24, v30
	v_mul_f32_e32 v28, v10, v28
	;; [unrolled: 1-line block ×3, first 2 shown]
	v_fma_f32 v10, v10, v27, -v74
	v_fma_f32 v19, v19, v29, -v75
	v_fmac_f32_e32 v28, v27, v2
	v_fmac_f32_e32 v30, v29, v24
	s_waitcnt vmcnt(3) lgkmcnt(2)
	v_mul_f32_e32 v2, v26, v32
	v_mul_f32_e32 v24, v23, v34
	;; [unrolled: 1-line block ×4, first 2 shown]
	v_sub_f32_e32 v32, v10, v19
	v_add_f32_e32 v34, v28, v30
	v_add_f32_e32 v74, v28, v22
	;; [unrolled: 1-line block ×4, first 2 shown]
	v_fma_f32 v2, v17, v31, -v2
	v_fma_f32 v76, v18, v33, -v24
	v_fmac_f32_e32 v27, v31, v26
	v_fmac_f32_e32 v29, v33, v23
	s_waitcnt vmcnt(2)
	v_mul_f32_e32 v24, v25, v36
	s_waitcnt lgkmcnt(1)
	v_mul_f32_e32 v26, v51, v38
	v_mul_f32_e32 v31, v16, v36
	;; [unrolled: 1-line block ×3, first 2 shown]
	v_sub_f32_e32 v28, v28, v30
	v_fma_f32 v18, -0.5, v34, v22
	v_add_f32_e32 v23, v30, v74
	v_fma_f32 v17, -0.5, v75, v15
	v_add_f32_e32 v22, v10, v19
	v_sub_f32_e32 v19, v2, v76
	v_add_f32_e32 v10, v27, v29
	v_add_f32_e32 v30, v27, v21
	;; [unrolled: 1-line block ×4, first 2 shown]
	v_fma_f32 v38, v16, v35, -v24
	v_fma_f32 v74, v13, v37, -v26
	v_fmac_f32_e32 v31, v35, v25
	v_fmac_f32_e32 v33, v37, v51
	s_waitcnt vmcnt(1) lgkmcnt(0)
	v_mul_f32_e32 v13, v53, v43
	v_mul_f32_e32 v35, v50, v45
	;; [unrolled: 1-line block ×4, first 2 shown]
	v_sub_f32_e32 v36, v27, v29
	v_fmamk_f32 v16, v32, 0x3f5db3d7, v18
	v_fmac_f32_e32 v18, 0xbf5db3d7, v32
	v_fmamk_f32 v15, v28, 0xbf5db3d7, v17
	v_fmac_f32_e32 v17, 0x3f5db3d7, v28
	v_fma_f32 v25, -0.5, v10, v21
	v_add_f32_e32 v27, v29, v30
	v_fma_f32 v24, -0.5, v34, v14
	v_add_f32_e32 v26, v2, v76
	v_sub_f32_e32 v14, v38, v74
	v_add_f32_e32 v2, v31, v33
	v_add_f32_e32 v21, v38, v74
	v_sub_f32_e32 v30, v31, v33
	v_add_f32_e32 v28, v31, v40
	v_add_f32_e32 v31, v7, v38
	v_fma_f32 v32, v9, v42, -v13
	v_fma_f32 v34, v12, v44, -v35
	v_fmac_f32_e32 v37, v42, v53
	v_fmac_f32_e32 v43, v44, v50
	s_waitcnt vmcnt(0)
	v_mul_f32_e32 v35, v52, v47
	v_mul_f32_e32 v38, v3, v49
	;; [unrolled: 1-line block ×4, first 2 shown]
	v_fmamk_f32 v10, v19, 0x3f5db3d7, v25
	v_fmac_f32_e32 v25, 0xbf5db3d7, v19
	v_fma_f32 v12, -0.5, v21, v7
	v_sub_f32_e32 v19, v32, v34
	v_add_f32_e32 v21, v32, v34
	v_add_f32_e32 v32, v6, v32
	v_fma_f32 v8, v8, v46, -v35
	v_fma_f32 v11, v11, v48, -v38
	v_fmac_f32_e32 v42, v46, v52
	v_fmac_f32_e32 v44, v48, v3
	v_fma_f32 v13, -0.5, v2, v40
	v_add_f32_e32 v7, v37, v43
	v_add_f32_e32 v29, v33, v28
	v_add_f32_e32 v28, v31, v74
	v_add_f32_e32 v31, v37, v39
	v_fmamk_f32 v2, v30, 0xbf5db3d7, v12
	v_fmac_f32_e32 v12, 0x3f5db3d7, v30
	v_fma_f32 v6, -0.5, v21, v6
	v_add_f32_e32 v30, v32, v34
	v_add_f32_e32 v21, v42, v44
	v_add_f32_e32 v34, v8, v11
	v_fmamk_f32 v3, v14, 0x3f5db3d7, v13
	v_fmac_f32_e32 v13, 0xbf5db3d7, v14
	v_sub_f32_e32 v14, v8, v11
	v_add_f32_e32 v35, v42, v41
	v_add_f32_e32 v8, v20, v8
	v_fmamk_f32 v9, v36, 0xbf5db3d7, v24
	v_fmac_f32_e32 v24, 0x3f5db3d7, v36
	v_sub_f32_e32 v36, v37, v43
	v_fma_f32 v7, -0.5, v7, v39
	v_add_f32_e32 v31, v43, v31
	v_sub_f32_e32 v37, v42, v44
	v_fma_f32 v21, -0.5, v21, v41
	v_fma_f32 v20, -0.5, v34, v20
	v_add_f32_e32 v35, v44, v35
	v_add_f32_e32 v34, v8, v11
	v_fmamk_f32 v33, v19, 0x3f5db3d7, v7
	v_fmamk_f32 v32, v36, 0xbf5db3d7, v6
	v_fmac_f32_e32 v7, 0xbf5db3d7, v19
	v_fmac_f32_e32 v6, 0x3f5db3d7, v36
	global_store_dwordx2 v[0:1], v[30:31], off offset:408
	v_fmamk_f32 v31, v14, 0x3f5db3d7, v21
	v_fmamk_f32 v30, v37, 0xbf5db3d7, v20
	v_fmac_f32_e32 v21, 0xbf5db3d7, v14
	v_fmac_f32_e32 v20, 0x3f5db3d7, v37
	global_store_dwordx2 v[64:65], v[2:3], off offset:800
	global_store_dwordx2 v[0:1], v[34:35], off
	global_store_dwordx2 v[54:55], v[6:7], off offset:400
	global_store_dwordx2 v[58:59], v[32:33], off offset:392
	;; [unrolled: 1-line block ×12, first 2 shown]
.LBB0_16:
	s_endpgm
	.section	.rodata,"a",@progbits
	.p2align	6, 0x0
	.amdhsa_kernel fft_rtc_fwd_len765_factors_17_3_5_3_wgs_255_tpt_51_halfLds_sp_ip_CI_unitstride_sbrr_dirReg
		.amdhsa_group_segment_fixed_size 0
		.amdhsa_private_segment_fixed_size 0
		.amdhsa_kernarg_size 88
		.amdhsa_user_sgpr_count 6
		.amdhsa_user_sgpr_private_segment_buffer 1
		.amdhsa_user_sgpr_dispatch_ptr 0
		.amdhsa_user_sgpr_queue_ptr 0
		.amdhsa_user_sgpr_kernarg_segment_ptr 1
		.amdhsa_user_sgpr_dispatch_id 0
		.amdhsa_user_sgpr_flat_scratch_init 0
		.amdhsa_user_sgpr_private_segment_size 0
		.amdhsa_wavefront_size32 1
		.amdhsa_uses_dynamic_stack 0
		.amdhsa_system_sgpr_private_segment_wavefront_offset 0
		.amdhsa_system_sgpr_workgroup_id_x 1
		.amdhsa_system_sgpr_workgroup_id_y 0
		.amdhsa_system_sgpr_workgroup_id_z 0
		.amdhsa_system_sgpr_workgroup_info 0
		.amdhsa_system_vgpr_workitem_id 0
		.amdhsa_next_free_vgpr 92
		.amdhsa_next_free_sgpr 21
		.amdhsa_reserve_vcc 1
		.amdhsa_reserve_flat_scratch 0
		.amdhsa_float_round_mode_32 0
		.amdhsa_float_round_mode_16_64 0
		.amdhsa_float_denorm_mode_32 3
		.amdhsa_float_denorm_mode_16_64 3
		.amdhsa_dx10_clamp 1
		.amdhsa_ieee_mode 1
		.amdhsa_fp16_overflow 0
		.amdhsa_workgroup_processor_mode 1
		.amdhsa_memory_ordered 1
		.amdhsa_forward_progress 0
		.amdhsa_shared_vgpr_count 0
		.amdhsa_exception_fp_ieee_invalid_op 0
		.amdhsa_exception_fp_denorm_src 0
		.amdhsa_exception_fp_ieee_div_zero 0
		.amdhsa_exception_fp_ieee_overflow 0
		.amdhsa_exception_fp_ieee_underflow 0
		.amdhsa_exception_fp_ieee_inexact 0
		.amdhsa_exception_int_div_zero 0
	.end_amdhsa_kernel
	.text
.Lfunc_end0:
	.size	fft_rtc_fwd_len765_factors_17_3_5_3_wgs_255_tpt_51_halfLds_sp_ip_CI_unitstride_sbrr_dirReg, .Lfunc_end0-fft_rtc_fwd_len765_factors_17_3_5_3_wgs_255_tpt_51_halfLds_sp_ip_CI_unitstride_sbrr_dirReg
                                        ; -- End function
	.section	.AMDGPU.csdata,"",@progbits
; Kernel info:
; codeLenInByte = 11108
; NumSgprs: 23
; NumVgprs: 92
; ScratchSize: 0
; MemoryBound: 0
; FloatMode: 240
; IeeeMode: 1
; LDSByteSize: 0 bytes/workgroup (compile time only)
; SGPRBlocks: 2
; VGPRBlocks: 11
; NumSGPRsForWavesPerEU: 23
; NumVGPRsForWavesPerEU: 92
; Occupancy: 10
; WaveLimiterHint : 1
; COMPUTE_PGM_RSRC2:SCRATCH_EN: 0
; COMPUTE_PGM_RSRC2:USER_SGPR: 6
; COMPUTE_PGM_RSRC2:TRAP_HANDLER: 0
; COMPUTE_PGM_RSRC2:TGID_X_EN: 1
; COMPUTE_PGM_RSRC2:TGID_Y_EN: 0
; COMPUTE_PGM_RSRC2:TGID_Z_EN: 0
; COMPUTE_PGM_RSRC2:TIDIG_COMP_CNT: 0
	.text
	.p2alignl 6, 3214868480
	.fill 48, 4, 3214868480
	.type	__hip_cuid_31e8bb34473cbf,@object ; @__hip_cuid_31e8bb34473cbf
	.section	.bss,"aw",@nobits
	.globl	__hip_cuid_31e8bb34473cbf
__hip_cuid_31e8bb34473cbf:
	.byte	0                               ; 0x0
	.size	__hip_cuid_31e8bb34473cbf, 1

	.ident	"AMD clang version 19.0.0git (https://github.com/RadeonOpenCompute/llvm-project roc-6.4.0 25133 c7fe45cf4b819c5991fe208aaa96edf142730f1d)"
	.section	".note.GNU-stack","",@progbits
	.addrsig
	.addrsig_sym __hip_cuid_31e8bb34473cbf
	.amdgpu_metadata
---
amdhsa.kernels:
  - .args:
      - .actual_access:  read_only
        .address_space:  global
        .offset:         0
        .size:           8
        .value_kind:     global_buffer
      - .offset:         8
        .size:           8
        .value_kind:     by_value
      - .actual_access:  read_only
        .address_space:  global
        .offset:         16
        .size:           8
        .value_kind:     global_buffer
      - .actual_access:  read_only
        .address_space:  global
        .offset:         24
        .size:           8
        .value_kind:     global_buffer
      - .offset:         32
        .size:           8
        .value_kind:     by_value
      - .actual_access:  read_only
        .address_space:  global
        .offset:         40
        .size:           8
        .value_kind:     global_buffer
      - .actual_access:  read_only
        .address_space:  global
        .offset:         48
        .size:           8
        .value_kind:     global_buffer
      - .offset:         56
        .size:           4
        .value_kind:     by_value
      - .actual_access:  read_only
        .address_space:  global
        .offset:         64
        .size:           8
        .value_kind:     global_buffer
      - .actual_access:  read_only
        .address_space:  global
        .offset:         72
        .size:           8
        .value_kind:     global_buffer
      - .address_space:  global
        .offset:         80
        .size:           8
        .value_kind:     global_buffer
    .group_segment_fixed_size: 0
    .kernarg_segment_align: 8
    .kernarg_segment_size: 88
    .language:       OpenCL C
    .language_version:
      - 2
      - 0
    .max_flat_workgroup_size: 255
    .name:           fft_rtc_fwd_len765_factors_17_3_5_3_wgs_255_tpt_51_halfLds_sp_ip_CI_unitstride_sbrr_dirReg
    .private_segment_fixed_size: 0
    .sgpr_count:     23
    .sgpr_spill_count: 0
    .symbol:         fft_rtc_fwd_len765_factors_17_3_5_3_wgs_255_tpt_51_halfLds_sp_ip_CI_unitstride_sbrr_dirReg.kd
    .uniform_work_group_size: 1
    .uses_dynamic_stack: false
    .vgpr_count:     92
    .vgpr_spill_count: 0
    .wavefront_size: 32
    .workgroup_processor_mode: 1
amdhsa.target:   amdgcn-amd-amdhsa--gfx1030
amdhsa.version:
  - 1
  - 2
...

	.end_amdgpu_metadata
